;; amdgpu-corpus repo=ROCm/rocFFT kind=compiled arch=gfx906 opt=O3
	.text
	.amdgcn_target "amdgcn-amd-amdhsa--gfx906"
	.amdhsa_code_object_version 6
	.protected	bluestein_single_fwd_len1377_dim1_dp_op_CI_CI ; -- Begin function bluestein_single_fwd_len1377_dim1_dp_op_CI_CI
	.globl	bluestein_single_fwd_len1377_dim1_dp_op_CI_CI
	.p2align	8
	.type	bluestein_single_fwd_len1377_dim1_dp_op_CI_CI,@function
bluestein_single_fwd_len1377_dim1_dp_op_CI_CI: ; @bluestein_single_fwd_len1377_dim1_dp_op_CI_CI
; %bb.0:
	s_load_dwordx4 s[8:11], s[4:5], 0x28
	s_mov_b64 s[66:67], s[2:3]
	v_mul_u32_u24_e32 v1, 0x506, v0
	s_mov_b64 s[64:65], s[0:1]
	v_add_u32_sdwa v4, s6, v1 dst_sel:DWORD dst_unused:UNUSED_PAD src0_sel:DWORD src1_sel:WORD_1
	v_mov_b32_e32 v5, 0
	s_add_u32 s64, s64, s7
	s_waitcnt lgkmcnt(0)
	v_cmp_gt_u64_e32 vcc, s[8:9], v[4:5]
	s_addc_u32 s65, s65, 0
	s_and_saveexec_b64 s[0:1], vcc
	s_cbranch_execz .LBB0_15
; %bb.1:
	s_load_dwordx4 s[0:3], s[4:5], 0x18
	v_mov_b32_e32 v2, 51
	v_mul_lo_u16_sdwa v1, v1, v2 dst_sel:DWORD dst_unused:UNUSED_PAD src0_sel:WORD_1 src1_sel:DWORD
	v_sub_u16_e32 v94, v0, v1
	v_mov_b32_e32 v5, v4
	s_waitcnt lgkmcnt(0)
	s_load_dwordx4 s[12:15], s[0:1], 0x0
	buffer_store_dword v5, off, s[64:67], 0 offset:124 ; 4-byte Folded Spill
	s_nop 0
	buffer_store_dword v6, off, s[64:67], 0 offset:128 ; 4-byte Folded Spill
	v_lshlrev_b32_e32 v255, 4, v94
	s_waitcnt lgkmcnt(0)
	v_mad_u64_u32 v[0:1], s[0:1], s14, v4, 0
	v_mad_u64_u32 v[2:3], s[0:1], s12, v94, 0
	s_mul_hi_u32 s6, s12, 0x51
	v_mad_u64_u32 v[4:5], s[0:1], s15, v4, v[1:2]
	s_load_dwordx2 s[14:15], s[4:5], 0x0
	v_mad_u64_u32 v[5:6], s[0:1], s13, v94, v[3:4]
	v_mov_b32_e32 v1, v4
	v_lshlrev_b64 v[0:1], 4, v[0:1]
	v_mov_b32_e32 v6, s11
	v_mov_b32_e32 v3, v5
	v_add_co_u32_e32 v4, vcc, s10, v0
	v_addc_co_u32_e32 v5, vcc, v6, v1, vcc
	v_lshlrev_b64 v[0:1], 4, v[2:3]
	s_waitcnt lgkmcnt(0)
	v_mov_b32_e32 v6, s15
	v_add_co_u32_e32 v4, vcc, v4, v0
	v_addc_co_u32_e32 v5, vcc, v5, v1, vcc
	v_add_co_u32_e32 v82, vcc, s14, v255
	s_movk_i32 s0, 0x1000
	s_movk_i32 s1, 0x2000
	v_addc_co_u32_e32 v83, vcc, 0, v6, vcc
	v_add_co_u32_e32 v12, vcc, s0, v82
	v_add_co_u32_e64 v14, s[0:1], s1, v82
	v_addc_co_u32_e32 v13, vcc, 0, v83, vcc
	v_addc_co_u32_e64 v15, vcc, 0, v83, s[0:1]
	s_mul_i32 s1, s13, 0x51
	s_mul_i32 s0, s12, 0x51
	s_add_i32 s1, s6, s1
	s_lshl_b64 s[16:17], s[0:1], 4
	global_load_dwordx4 v[84:87], v255, s[14:15]
	global_load_dwordx4 v[0:3], v[4:5], off
	v_mov_b32_e32 v16, s17
	v_add_co_u32_e32 v4, vcc, s16, v4
	v_addc_co_u32_e32 v5, vcc, v5, v16, vcc
	v_add_co_u32_e32 v6, vcc, s16, v4
	v_addc_co_u32_e32 v7, vcc, v5, v16, vcc
	global_load_dwordx4 v[155:158], v255, s[14:15] offset:1296
	global_load_dwordx4 v[151:154], v255, s[14:15] offset:2592
	;; [unrolled: 1-line block ×3, first 2 shown]
	global_load_dwordx4 v[143:146], v[12:13], off offset:1088
	global_load_dwordx4 v[131:134], v[12:13], off offset:2384
	;; [unrolled: 1-line block ×5, first 2 shown]
	global_load_dwordx4 v[18:21], v[4:5], off
	global_load_dwordx4 v[22:25], v[6:7], off
	v_add_co_u32_e32 v4, vcc, s16, v6
	v_addc_co_u32_e32 v5, vcc, v7, v16, vcc
	v_add_co_u32_e32 v6, vcc, s16, v4
	v_addc_co_u32_e32 v7, vcc, v5, v16, vcc
	global_load_dwordx4 v[26:29], v[4:5], off
	global_load_dwordx4 v[30:33], v[6:7], off
	v_add_co_u32_e32 v4, vcc, s16, v6
	v_addc_co_u32_e32 v5, vcc, v7, v16, vcc
	v_add_co_u32_e32 v6, vcc, s16, v4
	v_addc_co_u32_e32 v7, vcc, v5, v16, vcc
	global_load_dwordx4 v[34:37], v[4:5], off
	v_add_co_u32_e32 v4, vcc, s16, v6
	v_addc_co_u32_e32 v5, vcc, v7, v16, vcc
	global_load_dwordx4 v[38:41], v[6:7], off
	;; [unrolled: 3-line block ×4, first 2 shown]
	global_load_dwordx4 v[50:53], v[4:5], off
	global_load_dwordx4 v[119:122], v[14:15], off offset:3472
	v_add_co_u32_e32 v4, vcc, s16, v4
	v_addc_co_u32_e32 v5, vcc, v5, v16, vcc
	s_movk_i32 s0, 0x3000
	v_add_co_u32_e32 v10, vcc, s0, v82
	v_addc_co_u32_e32 v11, vcc, 0, v83, vcc
	global_load_dwordx4 v[54:57], v[4:5], off
	v_add_co_u32_e32 v4, vcc, s16, v4
	v_addc_co_u32_e32 v5, vcc, v5, v16, vcc
	global_load_dwordx4 v[58:61], v[4:5], off
	global_load_dwordx4 v[139:142], v[10:11], off offset:672
	global_load_dwordx4 v[123:126], v[10:11], off offset:1968
	v_add_co_u32_e32 v4, vcc, s16, v4
	v_addc_co_u32_e32 v5, vcc, v5, v16, vcc
	global_load_dwordx4 v[62:65], v[4:5], off
	global_load_dwordx4 v[115:118], v[10:11], off offset:3264
	v_add_co_u32_e32 v4, vcc, s16, v4
	v_addc_co_u32_e32 v5, vcc, v5, v16, vcc
	s_movk_i32 s0, 0x4000
	v_add_co_u32_e32 v8, vcc, s0, v82
	v_addc_co_u32_e32 v9, vcc, 0, v83, vcc
	global_load_dwordx4 v[66:69], v[4:5], off
	v_add_co_u32_e32 v4, vcc, s16, v4
	v_addc_co_u32_e32 v5, vcc, v5, v16, vcc
	global_load_dwordx4 v[70:73], v[4:5], off
	global_load_dwordx4 v[135:138], v[8:9], off offset:464
	global_load_dwordx4 v[103:106], v[8:9], off offset:1760
	v_add_co_u32_e32 v4, vcc, s16, v4
	v_addc_co_u32_e32 v5, vcc, v5, v16, vcc
	global_load_dwordx4 v[74:77], v[4:5], off
	global_load_dwordx4 v[107:110], v[8:9], off offset:3056
	v_add_co_u32_e32 v4, vcc, s16, v4
	v_addc_co_u32_e32 v5, vcc, v5, v16, vcc
	s_movk_i32 s0, 0x5000
	global_load_dwordx4 v[78:81], v[4:5], off
	v_add_co_u32_e32 v16, vcc, s0, v82
	buffer_store_dword v82, off, s[64:67], 0 offset:116 ; 4-byte Folded Spill
	s_nop 0
	buffer_store_dword v83, off, s[64:67], 0 offset:120 ; 4-byte Folded Spill
	s_waitcnt vmcnt(33)
	v_mul_f64 v[6:7], v[2:3], v[86:87]
	s_waitcnt vmcnt(21)
	v_mul_f64 v[88:89], v[32:33], v[145:146]
	v_mul_f64 v[90:91], v[30:31], v[145:146]
	s_waitcnt vmcnt(17)
	v_mul_f64 v[92:93], v[46:47], v[97:98]
	v_addc_co_u32_e32 v17, vcc, 0, v83, vcc
	global_load_dwordx4 v[127:130], v[16:17], off offset:256
	v_mul_f64 v[82:83], v[0:1], v[86:87]
	v_fma_f64 v[0:1], v[0:1], v[84:85], v[6:7]
	buffer_store_dword v84, off, s[64:67], 0 offset:164 ; 4-byte Folded Spill
	s_nop 0
	buffer_store_dword v85, off, s[64:67], 0 offset:168 ; 4-byte Folded Spill
	buffer_store_dword v86, off, s[64:67], 0 offset:172 ; 4-byte Folded Spill
	;; [unrolled: 1-line block ×3, first 2 shown]
	s_load_dwordx2 s[6:7], s[4:5], 0x38
	s_load_dwordx4 s[8:11], s[2:3], 0x0
	v_mul_f64 v[6:7], v[24:25], v[153:154]
	v_mul_f64 v[86:87], v[26:27], v[149:150]
	v_cmp_gt_u16_e32 vcc, 30, v94
	v_fma_f64 v[2:3], v[2:3], v[84:85], -v[82:83]
	v_mul_f64 v[84:85], v[28:29], v[149:150]
	v_mul_f64 v[82:83], v[22:23], v[153:154]
	ds_write_b128 v255, v[0:3]
	v_mul_f64 v[0:1], v[20:21], v[157:158]
	v_mul_f64 v[2:3], v[18:19], v[157:158]
	v_fma_f64 v[0:1], v[18:19], v[155:156], v[0:1]
	buffer_store_dword v155, off, s[64:67], 0 offset:388 ; 4-byte Folded Spill
	s_nop 0
	buffer_store_dword v156, off, s[64:67], 0 offset:392 ; 4-byte Folded Spill
	buffer_store_dword v157, off, s[64:67], 0 offset:396 ; 4-byte Folded Spill
	buffer_store_dword v158, off, s[64:67], 0 offset:400 ; 4-byte Folded Spill
	v_fma_f64 v[18:19], v[22:23], v[151:152], v[6:7]
	buffer_store_dword v151, off, s[64:67], 0 offset:372 ; 4-byte Folded Spill
	s_nop 0
	buffer_store_dword v152, off, s[64:67], 0 offset:376 ; 4-byte Folded Spill
	buffer_store_dword v153, off, s[64:67], 0 offset:380 ; 4-byte Folded Spill
	buffer_store_dword v154, off, s[64:67], 0 offset:384 ; 4-byte Folded Spill
	;; [unrolled: 6-line block ×4, first 2 shown]
	v_mul_f64 v[6:7], v[36:37], v[133:134]
	v_mul_f64 v[84:85], v[38:39], v[113:114]
	;; [unrolled: 1-line block ×3, first 2 shown]
	v_fma_f64 v[30:31], v[34:35], v[131:132], v[6:7]
	s_waitcnt vmcnt(33)
	v_mul_f64 v[6:7], v[56:57], v[141:142]
	v_fma_f64 v[2:3], v[20:21], v[155:156], -v[2:3]
	v_fma_f64 v[20:21], v[24:25], v[151:152], -v[82:83]
	v_mul_f64 v[82:83], v[40:41], v[113:114]
	v_fma_f64 v[24:25], v[28:29], v[147:148], -v[86:87]
	v_mul_f64 v[86:87], v[44:45], v[101:102]
	;; [unrolled: 2-line block ×3, first 2 shown]
	v_mul_f64 v[32:33], v[34:35], v[133:134]
	buffer_store_dword v131, off, s[64:67], 0 offset:292 ; 4-byte Folded Spill
	s_nop 0
	buffer_store_dword v132, off, s[64:67], 0 offset:296 ; 4-byte Folded Spill
	buffer_store_dword v133, off, s[64:67], 0 offset:300 ; 4-byte Folded Spill
	buffer_store_dword v134, off, s[64:67], 0 offset:304 ; 4-byte Folded Spill
	v_fma_f64 v[34:35], v[38:39], v[111:112], v[82:83]
	buffer_store_dword v111, off, s[64:67], 0 offset:212 ; 4-byte Folded Spill
	s_nop 0
	buffer_store_dword v112, off, s[64:67], 0 offset:216 ; 4-byte Folded Spill
	buffer_store_dword v113, off, s[64:67], 0 offset:220 ; 4-byte Folded Spill
	buffer_store_dword v114, off, s[64:67], 0 offset:224 ; 4-byte Folded Spill
	v_fma_f64 v[38:39], v[42:43], v[99:100], v[86:87]
	;; [unrolled: 6-line block ×3, first 2 shown]
	buffer_store_dword v95, off, s[64:67], 0 offset:132 ; 4-byte Folded Spill
	s_nop 0
	buffer_store_dword v96, off, s[64:67], 0 offset:136 ; 4-byte Folded Spill
	buffer_store_dword v97, off, s[64:67], 0 offset:140 ; 4-byte Folded Spill
	;; [unrolled: 1-line block ×3, first 2 shown]
	v_fma_f64 v[32:33], v[36:37], v[131:132], -v[32:33]
	v_fma_f64 v[36:37], v[40:41], v[111:112], -v[84:85]
	v_fma_f64 v[40:41], v[44:45], v[99:100], -v[88:89]
	v_fma_f64 v[44:45], v[48:49], v[95:96], -v[92:93]
	ds_write_b128 v255, v[0:3] offset:1296
	ds_write_b128 v255, v[18:21] offset:2592
	;; [unrolled: 1-line block ×8, first 2 shown]
	v_mul_f64 v[0:1], v[52:53], v[121:122]
	s_waitcnt vmcnt(48)
	v_mul_f64 v[22:23], v[60:61], v[125:126]
	s_waitcnt vmcnt(46)
	v_mul_f64 v[26:27], v[64:65], v[117:118]
	v_fma_f64 v[18:19], v[54:55], v[139:140], v[6:7]
	s_waitcnt vmcnt(43)
	v_mul_f64 v[6:7], v[68:69], v[137:138]
	s_waitcnt vmcnt(42)
	v_mul_f64 v[34:35], v[72:73], v[105:106]
	;; [unrolled: 2-line block ×4, first 2 shown]
	v_mul_f64 v[2:3], v[50:51], v[121:122]
	v_fma_f64 v[0:1], v[50:51], v[119:120], v[0:1]
	buffer_store_dword v119, off, s[64:67], 0 offset:244 ; 4-byte Folded Spill
	s_nop 0
	buffer_store_dword v120, off, s[64:67], 0 offset:248 ; 4-byte Folded Spill
	buffer_store_dword v121, off, s[64:67], 0 offset:252 ; 4-byte Folded Spill
	buffer_store_dword v122, off, s[64:67], 0 offset:256 ; 4-byte Folded Spill
	v_mul_f64 v[20:21], v[54:55], v[141:142]
	buffer_store_dword v139, off, s[64:67], 0 offset:324 ; 4-byte Folded Spill
	s_nop 0
	buffer_store_dword v140, off, s[64:67], 0 offset:328 ; 4-byte Folded Spill
	buffer_store_dword v141, off, s[64:67], 0 offset:332 ; 4-byte Folded Spill
	buffer_store_dword v142, off, s[64:67], 0 offset:336 ; 4-byte Folded Spill
	v_mul_f64 v[24:25], v[58:59], v[125:126]
	v_fma_f64 v[22:23], v[58:59], v[123:124], v[22:23]
	buffer_store_dword v123, off, s[64:67], 0 offset:260 ; 4-byte Folded Spill
	s_nop 0
	buffer_store_dword v124, off, s[64:67], 0 offset:264 ; 4-byte Folded Spill
	buffer_store_dword v125, off, s[64:67], 0 offset:268 ; 4-byte Folded Spill
	buffer_store_dword v126, off, s[64:67], 0 offset:272 ; 4-byte Folded Spill
	v_mul_f64 v[28:29], v[62:63], v[117:118]
	v_fma_f64 v[26:27], v[62:63], v[115:116], v[26:27]
	;; [unrolled: 7-line block ×6, first 2 shown]
	buffer_store_dword v127, off, s[64:67], 0 offset:276 ; 4-byte Folded Spill
	s_nop 0
	buffer_store_dword v128, off, s[64:67], 0 offset:280 ; 4-byte Folded Spill
	buffer_store_dword v129, off, s[64:67], 0 offset:284 ; 4-byte Folded Spill
	;; [unrolled: 1-line block ×3, first 2 shown]
	v_fma_f64 v[2:3], v[52:53], v[119:120], -v[2:3]
	v_fma_f64 v[20:21], v[56:57], v[139:140], -v[20:21]
	;; [unrolled: 1-line block ×8, first 2 shown]
	ds_write_b128 v255, v[0:3] offset:11664
	ds_write_b128 v255, v[18:21] offset:12960
	;; [unrolled: 1-line block ×8, first 2 shown]
	buffer_store_dword v94, off, s[64:67], 0 ; 4-byte Folded Spill
	s_and_saveexec_b64 s[2:3], vcc
	s_cbranch_execz .LBB0_3
; %bb.2:
	buffer_load_dword v22, off, s[64:67], 0 offset:116 ; 4-byte Folded Reload
	buffer_load_dword v23, off, s[64:67], 0 offset:120 ; 4-byte Folded Reload
	v_mov_b32_e32 v0, 0xffffb230
	v_mad_u64_u32 v[62:63], s[0:1], s12, v0, v[4:5]
	s_mul_i32 s0, s13, 0xffffb230
	s_sub_i32 s0, s0, s12
	v_add_u32_e32 v63, s0, v63
	v_mov_b32_e32 v132, s17
	s_waitcnt vmcnt(0)
	global_load_dwordx4 v[0:3], v[22:23], off offset:816
	global_load_dwordx4 v[4:7], v[62:63], off
	global_load_dwordx4 v[18:21], v[22:23], off offset:2112
	s_nop 0
	global_load_dwordx4 v[22:25], v[22:23], off offset:3408
	s_nop 0
	global_load_dwordx4 v[26:29], v[12:13], off offset:608
	global_load_dwordx4 v[30:33], v[12:13], off offset:1904
	;; [unrolled: 1-line block ×6, first 2 shown]
                                        ; kill: killed $vgpr12 killed $vgpr13
                                        ; kill: killed $vgpr14 killed $vgpr15
	s_nop 0
	global_load_dwordx4 v[12:15], v[10:11], off offset:192
	global_load_dwordx4 v[50:53], v[10:11], off offset:1488
	;; [unrolled: 1-line block ×4, first 2 shown]
	v_add_co_u32_e64 v10, s[0:1], s16, v62
	v_addc_co_u32_e64 v11, s[0:1], v63, v132, s[0:1]
	v_add_co_u32_e64 v69, s[0:1], s16, v10
	v_addc_co_u32_e64 v70, s[0:1], v11, v132, s[0:1]
	global_load_dwordx4 v[62:65], v[10:11], off
	v_add_co_u32_e64 v10, s[0:1], s16, v69
	v_addc_co_u32_e64 v11, s[0:1], v70, v132, s[0:1]
	v_add_co_u32_e64 v77, s[0:1], s16, v10
	v_addc_co_u32_e64 v78, s[0:1], v11, v132, s[0:1]
	global_load_dwordx4 v[66:69], v[69:70], off
	s_waitcnt vmcnt(14)
	v_mul_f64 v[138:139], v[6:7], v[2:3]
	global_load_dwordx4 v[70:73], v[10:11], off
	v_add_co_u32_e64 v10, s[0:1], s16, v77
	global_load_dwordx4 v[74:77], v[77:78], off
	v_addc_co_u32_e64 v11, s[0:1], v78, v132, s[0:1]
	v_add_co_u32_e64 v85, s[0:1], s16, v10
	v_addc_co_u32_e64 v86, s[0:1], v11, v132, s[0:1]
	global_load_dwordx4 v[78:81], v[10:11], off
	v_add_co_u32_e64 v10, s[0:1], s16, v85
	v_addc_co_u32_e64 v11, s[0:1], v86, v132, s[0:1]
	global_load_dwordx4 v[82:85], v[85:86], off
	v_add_co_u32_e64 v93, s[0:1], s16, v10
	global_load_dwordx4 v[86:89], v[10:11], off
	v_addc_co_u32_e64 v94, s[0:1], v11, v132, s[0:1]
	v_add_co_u32_e64 v10, s[0:1], s16, v93
	global_load_dwordx4 v[90:93], v[93:94], off
	v_addc_co_u32_e64 v11, s[0:1], v94, v132, s[0:1]
	v_add_co_u32_e64 v101, s[0:1], s16, v10
	v_addc_co_u32_e64 v102, s[0:1], v11, v132, s[0:1]
	global_load_dwordx4 v[94:97], v[10:11], off
	v_add_co_u32_e64 v10, s[0:1], s16, v101
	v_addc_co_u32_e64 v11, s[0:1], v102, v132, s[0:1]
	v_add_co_u32_e64 v109, s[0:1], s16, v10
	v_addc_co_u32_e64 v110, s[0:1], v11, v132, s[0:1]
	global_load_dwordx4 v[98:101], v[101:102], off
	s_nop 0
	global_load_dwordx4 v[102:105], v[10:11], off
	v_add_co_u32_e64 v10, s[0:1], s16, v109
	global_load_dwordx4 v[106:109], v[109:110], off
	v_addc_co_u32_e64 v11, s[0:1], v110, v132, s[0:1]
	global_load_dwordx4 v[110:113], v[10:11], off
	v_add_co_u32_e64 v10, s[0:1], s16, v10
	v_addc_co_u32_e64 v11, s[0:1], v11, v132, s[0:1]
	v_add_co_u32_e64 v130, s[0:1], s16, v10
	global_load_dwordx4 v[114:117], v[8:9], off offset:1280
	v_addc_co_u32_e64 v131, s[0:1], v11, v132, s[0:1]
	global_load_dwordx4 v[118:121], v[10:11], off
	global_load_dwordx4 v[122:125], v[130:131], off
	global_load_dwordx4 v[126:129], v[8:9], off offset:2576
	s_nop 0
	global_load_dwordx4 v[8:11], v[8:9], off offset:3872
	v_add_co_u32_e64 v130, s[0:1], s16, v130
	v_addc_co_u32_e64 v131, s[0:1], v131, v132, s[0:1]
	global_load_dwordx4 v[130:133], v[130:131], off
	s_nop 0
	global_load_dwordx4 v[134:137], v[16:17], off offset:1072
	v_mul_f64 v[16:17], v[4:5], v[2:3]
	v_fma_f64 v[2:3], v[4:5], v[0:1], v[138:139]
	v_fma_f64 v[4:5], v[6:7], v[0:1], -v[16:17]
	s_waitcnt vmcnt(19)
	v_mul_f64 v[0:1], v[64:65], v[20:21]
	s_waitcnt vmcnt(18)
	v_mul_f64 v[6:7], v[66:67], v[24:25]
	ds_write_b128 v255, v[2:5] offset:816
	v_mul_f64 v[2:3], v[62:63], v[20:21]
	v_mul_f64 v[4:5], v[68:69], v[24:25]
	s_waitcnt vmcnt(17)
	v_mul_f64 v[16:17], v[72:73], v[28:29]
	v_mul_f64 v[20:21], v[70:71], v[28:29]
	s_waitcnt vmcnt(16)
	v_mul_f64 v[24:25], v[76:77], v[32:33]
	v_mul_f64 v[28:29], v[74:75], v[32:33]
	v_fma_f64 v[0:1], v[62:63], v[18:19], v[0:1]
	v_fma_f64 v[6:7], v[68:69], v[22:23], -v[6:7]
	v_fma_f64 v[2:3], v[64:65], v[18:19], -v[2:3]
	v_fma_f64 v[4:5], v[66:67], v[22:23], v[4:5]
	v_fma_f64 v[16:17], v[70:71], v[26:27], v[16:17]
	v_fma_f64 v[18:19], v[72:73], v[26:27], -v[20:21]
	v_fma_f64 v[20:21], v[74:75], v[30:31], v[24:25]
	s_waitcnt vmcnt(15)
	v_mul_f64 v[24:25], v[80:81], v[36:37]
	v_mul_f64 v[26:27], v[78:79], v[36:37]
	v_fma_f64 v[22:23], v[76:77], v[30:31], -v[28:29]
	s_waitcnt vmcnt(14)
	v_mul_f64 v[28:29], v[84:85], v[40:41]
	v_mul_f64 v[30:31], v[82:83], v[40:41]
	s_waitcnt vmcnt(13)
	v_mul_f64 v[32:33], v[88:89], v[44:45]
	v_mul_f64 v[36:37], v[86:87], v[44:45]
	v_fma_f64 v[24:25], v[78:79], v[34:35], v[24:25]
	s_waitcnt vmcnt(12)
	v_mul_f64 v[40:41], v[92:93], v[48:49]
	v_mul_f64 v[44:45], v[90:91], v[48:49]
	v_fma_f64 v[26:27], v[80:81], v[34:35], -v[26:27]
	v_fma_f64 v[28:29], v[82:83], v[38:39], v[28:29]
	v_fma_f64 v[30:31], v[84:85], v[38:39], -v[30:31]
	v_fma_f64 v[32:33], v[86:87], v[42:43], v[32:33]
	;; [unrolled: 2-line block ×3, first 2 shown]
	v_fma_f64 v[38:39], v[92:93], v[46:47], -v[44:45]
	ds_write_b128 v255, v[0:3] offset:2112
	ds_write_b128 v255, v[4:7] offset:3408
	;; [unrolled: 1-line block ×8, first 2 shown]
	s_waitcnt vmcnt(11)
	v_mul_f64 v[0:1], v[96:97], v[14:15]
	v_mul_f64 v[2:3], v[94:95], v[14:15]
	s_waitcnt vmcnt(10)
	v_mul_f64 v[4:5], v[100:101], v[52:53]
	v_mul_f64 v[6:7], v[98:99], v[52:53]
	;; [unrolled: 3-line block ×3, first 2 shown]
	v_fma_f64 v[0:1], v[94:95], v[12:13], v[0:1]
	s_waitcnt vmcnt(8)
	v_mul_f64 v[18:19], v[108:109], v[60:61]
	v_mul_f64 v[20:21], v[106:107], v[60:61]
	v_fma_f64 v[2:3], v[96:97], v[12:13], -v[2:3]
	v_fma_f64 v[4:5], v[98:99], v[50:51], v[4:5]
	v_fma_f64 v[6:7], v[100:101], v[50:51], -v[6:7]
	v_fma_f64 v[12:13], v[102:103], v[54:55], v[14:15]
	v_fma_f64 v[14:15], v[104:105], v[54:55], -v[16:17]
	v_fma_f64 v[16:17], v[106:107], v[58:59], v[18:19]
	v_fma_f64 v[18:19], v[108:109], v[58:59], -v[20:21]
	s_waitcnt vmcnt(6)
	v_mul_f64 v[20:21], v[112:113], v[116:117]
	v_mul_f64 v[22:23], v[110:111], v[116:117]
	s_waitcnt vmcnt(3)
	v_mul_f64 v[24:25], v[120:121], v[128:129]
	v_mul_f64 v[26:27], v[118:119], v[128:129]
	;; [unrolled: 3-line block ×3, first 2 shown]
	v_fma_f64 v[20:21], v[110:111], v[114:115], v[20:21]
	s_waitcnt vmcnt(0)
	v_mul_f64 v[32:33], v[132:133], v[136:137]
	v_mul_f64 v[34:35], v[130:131], v[136:137]
	v_fma_f64 v[22:23], v[112:113], v[114:115], -v[22:23]
	v_fma_f64 v[24:25], v[118:119], v[126:127], v[24:25]
	v_fma_f64 v[26:27], v[120:121], v[126:127], -v[26:27]
	v_fma_f64 v[28:29], v[122:123], v[8:9], v[28:29]
	;; [unrolled: 2-line block ×3, first 2 shown]
	v_fma_f64 v[10:11], v[132:133], v[134:135], -v[34:35]
	ds_write_b128 v255, v[0:3] offset:12480
	ds_write_b128 v255, v[4:7] offset:13776
	;; [unrolled: 1-line block ×8, first 2 shown]
.LBB0_3:
	s_or_b64 exec, exec, s[2:3]
	s_waitcnt lgkmcnt(0)
	; wave barrier
	s_waitcnt lgkmcnt(0)
	ds_read_b128 v[120:123], v255
	ds_read_b128 v[132:135], v255 offset:1296
	ds_read_b128 v[124:127], v255 offset:2592
	;; [unrolled: 1-line block ×16, first 2 shown]
	s_load_dwordx2 s[2:3], s[4:5], 0x8
                                        ; implicit-def: $vgpr0_vgpr1
                                        ; implicit-def: $vgpr56_vgpr57
                                        ; implicit-def: $vgpr60_vgpr61
                                        ; implicit-def: $vgpr64_vgpr65
                                        ; implicit-def: $vgpr52_vgpr53
                                        ; implicit-def: $vgpr48_vgpr49
                                        ; implicit-def: $vgpr12_vgpr13
                                        ; implicit-def: $vgpr4_vgpr5
                                        ; implicit-def: $vgpr8_vgpr9
                                        ; implicit-def: $vgpr16_vgpr17
                                        ; implicit-def: $vgpr20_vgpr21
                                        ; implicit-def: $vgpr24_vgpr25
                                        ; implicit-def: $vgpr28_vgpr29
                                        ; implicit-def: $vgpr32_vgpr33
                                        ; implicit-def: $vgpr36_vgpr37
                                        ; implicit-def: $vgpr40_vgpr41
                                        ; implicit-def: $vgpr44_vgpr45
	s_and_saveexec_b64 s[0:1], vcc
	s_cbranch_execz .LBB0_5
; %bb.4:
	ds_read_b128 v[0:3], v255 offset:816
	ds_read_b128 v[56:59], v255 offset:2112
	;; [unrolled: 1-line block ×17, first 2 shown]
.LBB0_5:
	s_or_b64 exec, exec, s[0:1]
	s_waitcnt lgkmcnt(0)
	v_add_f64 v[136:137], v[120:121], v[132:133]
	v_add_f64 v[138:139], v[122:123], v[134:135]
	;; [unrolled: 1-line block ×4, first 2 shown]
	v_add_f64 v[132:133], v[132:133], -v[68:69]
	v_add_f64 v[134:135], v[134:135], -v[70:71]
	s_mov_b32 s38, 0x923c349f
	s_mov_b32 s40, 0x6c9a05f6
	v_add_f64 v[136:137], v[136:137], v[124:125]
	v_add_f64 v[138:139], v[138:139], v[126:127]
	s_mov_b32 s39, 0xbfeec746
	s_mov_b32 s41, 0xbfe9895b
	v_mul_f64 v[166:167], v[132:133], s[40:41]
	v_mul_f64 v[160:161], v[134:135], s[38:39]
	;; [unrolled: 1-line block ×3, first 2 shown]
	s_mov_b32 s18, 0xc61f0d01
	v_add_f64 v[136:137], v[136:137], v[112:113]
	v_add_f64 v[138:139], v[138:139], v[114:115]
	s_mov_b32 s24, 0x6ed5f1bb
	s_mov_b32 s42, 0x4363dd80
	;; [unrolled: 1-line block ×5, first 2 shown]
	v_mul_f64 v[162:163], v[132:133], s[38:39]
	v_add_f64 v[136:137], v[136:137], v[104:105]
	v_add_f64 v[138:139], v[138:139], v[106:107]
	v_mul_f64 v[168:169], v[134:135], s[42:43]
	v_fma_f64 v[188:189], v[140:141], s[18:19], -v[160:161]
	v_fma_f64 v[160:161], v[140:141], s[18:19], v[160:161]
	v_fma_f64 v[192:193], v[140:141], s[24:25], -v[164:165]
	v_fma_f64 v[194:195], v[142:143], s[24:25], v[166:167]
	s_mov_b32 s28, 0x5d8e7cdc
	v_add_f64 v[136:137], v[136:137], v[96:97]
	v_add_f64 v[138:139], v[138:139], v[98:99]
	s_mov_b32 s30, 0x2a9d6da3
	s_mov_b32 s34, 0x7c9e640b
	;; [unrolled: 1-line block ×6, first 2 shown]
	v_add_f64 v[136:137], v[136:137], v[88:89]
	v_add_f64 v[138:139], v[138:139], v[90:91]
	s_mov_b32 s31, 0xbfe58eea
	s_mov_b32 s35, 0xbfeca52d
	;; [unrolled: 1-line block ×5, first 2 shown]
	v_mul_f64 v[144:145], v[134:135], s[28:29]
	v_add_f64 v[136:137], v[136:137], v[80:81]
	v_add_f64 v[138:139], v[138:139], v[82:83]
	v_mul_f64 v[146:147], v[132:133], s[28:29]
	v_mul_f64 v[148:149], v[134:135], s[30:31]
	;; [unrolled: 1-line block ×6, first 2 shown]
	v_add_f64 v[136:137], v[136:137], v[72:73]
	v_add_f64 v[138:139], v[138:139], v[74:75]
	v_mul_f64 v[158:159], v[132:133], s[36:37]
	v_mul_f64 v[170:171], v[132:133], s[42:43]
	v_fma_f64 v[190:191], v[142:143], s[18:19], v[162:163]
	v_fma_f64 v[162:163], v[142:143], s[18:19], -v[162:163]
	v_fma_f64 v[164:165], v[140:141], s[24:25], v[164:165]
	v_fma_f64 v[166:167], v[142:143], s[24:25], -v[166:167]
	v_add_f64 v[136:137], v[136:137], v[76:77]
	v_add_f64 v[138:139], v[138:139], v[78:79]
	v_fma_f64 v[196:197], v[140:141], s[22:23], -v[168:169]
	v_mul_f64 v[134:135], v[134:135], s[44:45]
	v_mul_f64 v[132:133], v[132:133], s[44:45]
	s_mov_b32 s4, 0x370991
	s_mov_b32 s20, 0x75d4884
	;; [unrolled: 1-line block ×3, first 2 shown]
	v_add_f64 v[136:137], v[136:137], v[84:85]
	v_add_f64 v[138:139], v[138:139], v[86:87]
	s_mov_b32 s16, 0x3259b75e
	s_mov_b32 s26, 0x7faef3
	;; [unrolled: 1-line block ×6, first 2 shown]
	v_add_f64 v[136:137], v[136:137], v[92:93]
	v_add_f64 v[138:139], v[138:139], v[94:95]
	s_mov_b32 s27, 0xbfef7484
	v_fma_f64 v[172:173], v[140:141], s[4:5], -v[144:145]
	v_fma_f64 v[174:175], v[142:143], s[4:5], v[146:147]
	v_fma_f64 v[144:145], v[140:141], s[4:5], v[144:145]
	v_fma_f64 v[146:147], v[142:143], s[4:5], -v[146:147]
	v_fma_f64 v[176:177], v[140:141], s[20:21], -v[148:149]
	v_add_f64 v[136:137], v[136:137], v[100:101]
	v_add_f64 v[138:139], v[138:139], v[102:103]
	v_fma_f64 v[178:179], v[142:143], s[20:21], v[150:151]
	v_fma_f64 v[148:149], v[140:141], s[20:21], v[148:149]
	v_fma_f64 v[150:151], v[142:143], s[20:21], -v[150:151]
	v_fma_f64 v[180:181], v[140:141], s[12:13], -v[152:153]
	v_fma_f64 v[182:183], v[142:143], s[12:13], v[154:155]
	v_fma_f64 v[152:153], v[140:141], s[12:13], v[152:153]
	v_add_f64 v[136:137], v[136:137], v[108:109]
	v_add_f64 v[138:139], v[138:139], v[110:111]
	v_fma_f64 v[154:155], v[142:143], s[12:13], -v[154:155]
	v_fma_f64 v[184:185], v[140:141], s[16:17], -v[156:157]
	v_fma_f64 v[186:187], v[142:143], s[16:17], v[158:159]
	v_fma_f64 v[156:157], v[140:141], s[16:17], v[156:157]
	v_fma_f64 v[158:159], v[142:143], s[16:17], -v[158:159]
	v_fma_f64 v[168:169], v[140:141], s[22:23], v[168:169]
	v_add_f64 v[136:137], v[136:137], v[116:117]
	v_add_f64 v[138:139], v[138:139], v[118:119]
	v_fma_f64 v[198:199], v[142:143], s[26:27], v[132:133]
	v_fma_f64 v[132:133], v[142:143], s[26:27], -v[132:133]
	v_add_f64 v[172:173], v[120:121], v[172:173]
	v_add_f64 v[174:175], v[122:123], v[174:175]
	;; [unrolled: 1-line block ×15, first 2 shown]
	v_add_f64 v[192:193], v[126:127], -v[130:131]
	v_add_f64 v[136:137], v[122:123], v[162:163]
	v_add_f64 v[162:163], v[120:121], v[164:165]
	;; [unrolled: 1-line block ×4, first 2 shown]
	buffer_store_dword v68, off, s[64:67], 0 offset:404 ; 4-byte Folded Spill
	s_nop 0
	buffer_store_dword v69, off, s[64:67], 0 offset:408 ; 4-byte Folded Spill
	buffer_store_dword v70, off, s[64:67], 0 offset:412 ; 4-byte Folded Spill
	;; [unrolled: 1-line block ×3, first 2 shown]
	v_add_f64 v[70:71], v[120:121], v[160:161]
	v_add_f64 v[160:161], v[122:123], v[194:195]
	v_add_f64 v[194:195], v[124:125], -v[128:129]
	v_fma_f64 v[68:69], v[142:143], s[22:23], v[170:171]
	v_fma_f64 v[170:171], v[142:143], s[22:23], -v[170:171]
	v_add_f64 v[124:125], v[124:125], v[128:129]
	v_add_f64 v[126:127], v[126:127], v[130:131]
	v_mul_f64 v[128:129], v[192:193], s[30:31]
	v_fma_f64 v[196:197], v[140:141], s[26:27], -v[134:135]
	v_fma_f64 v[134:135], v[140:141], s[26:27], v[134:135]
	v_mul_f64 v[130:131], v[194:195], s[30:31]
	v_add_f64 v[152:153], v[120:121], v[152:153]
	v_add_f64 v[154:155], v[122:123], v[154:155]
	;; [unrolled: 1-line block ×11, first 2 shown]
	v_fma_f64 v[168:169], v[124:125], s[20:21], -v[128:129]
	v_fma_f64 v[170:171], v[126:127], s[20:21], v[130:131]
	v_add_f64 v[196:197], v[120:121], v[196:197]
	v_add_f64 v[198:199], v[122:123], v[198:199]
	v_add_f64 v[120:121], v[120:121], v[134:135]
	v_add_f64 v[122:123], v[122:123], v[132:133]
	v_mul_f64 v[132:133], v[192:193], s[36:37]
	v_mul_f64 v[134:135], v[194:195], s[36:37]
	v_add_f64 v[168:169], v[168:169], v[172:173]
	v_add_f64 v[170:171], v[170:171], v[174:175]
	v_mul_f64 v[172:173], v[192:193], s[40:41]
	v_mul_f64 v[174:175], v[194:195], s[40:41]
	v_fma_f64 v[128:129], v[124:125], s[20:21], v[128:129]
	v_fma_f64 v[130:131], v[126:127], s[20:21], -v[130:131]
	v_fma_f64 v[200:201], v[124:125], s[16:17], -v[132:133]
	v_fma_f64 v[202:203], v[126:127], s[16:17], v[134:135]
	v_fma_f64 v[132:133], v[124:125], s[16:17], v[132:133]
	v_fma_f64 v[134:135], v[126:127], s[16:17], -v[134:135]
	v_fma_f64 v[204:205], v[124:125], s[24:25], -v[172:173]
	v_fma_f64 v[206:207], v[126:127], s[24:25], v[174:175]
	v_add_f64 v[128:129], v[128:129], v[144:145]
	v_add_f64 v[130:131], v[130:131], v[146:147]
	;; [unrolled: 1-line block ×4, first 2 shown]
	v_mul_f64 v[176:177], v[192:193], s[44:45]
	v_mul_f64 v[178:179], v[194:195], s[44:45]
	s_mov_b32 s49, 0x3fe0d888
	s_mov_b32 s48, s42
	v_add_f64 v[132:133], v[132:133], v[148:149]
	v_add_f64 v[134:135], v[134:135], v[150:151]
	;; [unrolled: 1-line block ×4, first 2 shown]
	v_mul_f64 v[180:181], v[192:193], s[48:49]
	v_mul_f64 v[182:183], v[194:195], s[48:49]
	v_fma_f64 v[172:173], v[124:125], s[24:25], v[172:173]
	v_fma_f64 v[174:175], v[126:127], s[24:25], -v[174:175]
	v_fma_f64 v[200:201], v[124:125], s[26:27], -v[176:177]
	v_fma_f64 v[202:203], v[126:127], s[26:27], v[178:179]
	s_mov_b32 s51, 0x3feec746
	s_mov_b32 s50, s38
	v_fma_f64 v[204:205], v[124:125], s[22:23], -v[180:181]
	v_fma_f64 v[206:207], v[126:127], s[22:23], v[182:183]
	v_add_f64 v[152:153], v[172:173], v[152:153]
	v_add_f64 v[154:155], v[174:175], v[154:155]
	;; [unrolled: 1-line block ×4, first 2 shown]
	v_mul_f64 v[184:185], v[192:193], s[50:51]
	v_mul_f64 v[186:187], v[194:195], s[50:51]
	v_fma_f64 v[180:181], v[124:125], s[22:23], v[180:181]
	v_fma_f64 v[182:183], v[126:127], s[22:23], -v[182:183]
	v_fma_f64 v[176:177], v[124:125], s[26:27], v[176:177]
	v_fma_f64 v[178:179], v[126:127], s[26:27], -v[178:179]
	s_mov_b32 s47, 0x3feca52d
	s_mov_b32 s46, s34
	v_fma_f64 v[200:201], v[124:125], s[18:19], -v[184:185]
	v_fma_f64 v[202:203], v[126:127], s[18:19], v[186:187]
	v_fma_f64 v[184:185], v[124:125], s[18:19], v[184:185]
	v_fma_f64 v[186:187], v[126:127], s[18:19], -v[186:187]
	v_add_f64 v[70:71], v[180:181], v[70:71]
	v_add_f64 v[136:137], v[182:183], v[136:137]
	v_add_f64 v[180:181], v[114:115], -v[118:119]
	v_add_f64 v[182:183], v[112:113], -v[116:117]
	s_mov_b32 s53, 0x3fd71e95
	s_mov_b32 s52, s28
	v_add_f64 v[156:157], v[176:177], v[156:157]
	v_add_f64 v[158:159], v[178:179], v[158:159]
	;; [unrolled: 1-line block ×4, first 2 shown]
	v_mul_f64 v[188:189], v[192:193], s[46:47]
	v_mul_f64 v[190:191], v[194:195], s[46:47]
	v_add_f64 v[162:163], v[184:185], v[162:163]
	v_add_f64 v[164:165], v[186:187], v[164:165]
	v_mul_f64 v[184:185], v[192:193], s[52:53]
	v_mul_f64 v[186:187], v[194:195], s[52:53]
	v_add_f64 v[112:113], v[112:113], v[116:117]
	v_add_f64 v[114:115], v[114:115], v[118:119]
	v_mul_f64 v[116:117], v[180:181], s[34:35]
	v_mul_f64 v[118:119], v[182:183], s[34:35]
	v_fma_f64 v[204:205], v[124:125], s[12:13], -v[188:189]
	v_fma_f64 v[206:207], v[126:127], s[12:13], v[190:191]
	v_fma_f64 v[188:189], v[124:125], s[12:13], v[188:189]
	v_fma_f64 v[190:191], v[126:127], s[12:13], -v[190:191]
	v_fma_f64 v[192:193], v[124:125], s[4:5], -v[184:185]
	v_fma_f64 v[194:195], v[126:127], s[4:5], v[186:187]
	v_fma_f64 v[124:125], v[124:125], s[4:5], v[184:185]
	v_fma_f64 v[126:127], v[126:127], s[4:5], -v[186:187]
	v_fma_f64 v[184:185], v[112:113], s[12:13], -v[116:117]
	v_fma_f64 v[186:187], v[114:115], s[12:13], v[118:119]
	s_mov_b32 s57, 0x3fc7851a
	s_mov_b32 s56, s44
	v_add_f64 v[140:141], v[188:189], v[140:141]
	v_add_f64 v[142:143], v[190:191], v[142:143]
	;; [unrolled: 1-line block ×6, first 2 shown]
	v_mul_f64 v[168:169], v[180:181], s[40:41]
	v_mul_f64 v[170:171], v[182:183], s[40:41]
	;; [unrolled: 1-line block ×4, first 2 shown]
	v_add_f64 v[188:189], v[192:193], v[196:197]
	v_add_f64 v[190:191], v[194:195], v[198:199]
	v_fma_f64 v[116:117], v[112:113], s[12:13], v[116:117]
	v_fma_f64 v[118:119], v[114:115], s[12:13], -v[118:119]
	v_fma_f64 v[192:193], v[112:113], s[24:25], -v[168:169]
	v_fma_f64 v[194:195], v[114:115], s[24:25], v[170:171]
	v_fma_f64 v[168:169], v[112:113], s[24:25], v[168:169]
	v_fma_f64 v[196:197], v[112:113], s[26:27], -v[184:185]
	v_fma_f64 v[198:199], v[114:115], s[26:27], v[186:187]
	s_mov_b32 s55, 0x3fe58eea
	s_mov_b32 s54, s30
	v_add_f64 v[116:117], v[116:117], v[128:129]
	v_add_f64 v[118:119], v[118:119], v[130:131]
	;; [unrolled: 1-line block ×7, first 2 shown]
	v_mul_f64 v[148:149], v[180:181], s[50:51]
	v_mul_f64 v[150:151], v[182:183], s[50:51]
	v_fma_f64 v[168:169], v[112:113], s[26:27], v[184:185]
	v_mul_f64 v[184:185], v[180:181], s[54:55]
	v_fma_f64 v[170:171], v[114:115], s[24:25], -v[170:171]
	v_add_f64 v[166:167], v[204:205], v[166:167]
	s_mov_b32 s59, 0x3fe9895b
	s_mov_b32 s58, s40
	v_fma_f64 v[192:193], v[112:113], s[18:19], -v[148:149]
	v_fma_f64 v[194:195], v[114:115], s[18:19], v[150:151]
	v_fma_f64 v[148:149], v[112:113], s[18:19], v[148:149]
	v_fma_f64 v[150:151], v[114:115], s[18:19], -v[150:151]
	v_add_f64 v[152:153], v[168:169], v[152:153]
	v_fma_f64 v[168:169], v[112:113], s[20:21], -v[184:185]
	v_add_f64 v[134:135], v[170:171], v[134:135]
	v_fma_f64 v[170:171], v[114:115], s[26:27], -v[186:187]
	v_mul_f64 v[186:187], v[182:183], s[54:55]
	v_add_f64 v[172:173], v[192:193], v[172:173]
	v_add_f64 v[148:149], v[148:149], v[156:157]
	;; [unrolled: 1-line block ×3, first 2 shown]
	v_mul_f64 v[156:157], v[180:181], s[28:29]
	v_mul_f64 v[158:159], v[182:183], s[28:29]
	v_add_f64 v[168:169], v[168:169], v[176:177]
	v_mul_f64 v[176:177], v[180:181], s[36:37]
	v_add_f64 v[154:155], v[170:171], v[154:155]
	v_fma_f64 v[170:171], v[114:115], s[20:21], v[186:187]
	v_add_f64 v[174:175], v[194:195], v[174:175]
	v_fma_f64 v[184:185], v[112:113], s[20:21], v[184:185]
	v_fma_f64 v[192:193], v[112:113], s[4:5], -v[156:157]
	v_fma_f64 v[194:195], v[114:115], s[4:5], v[158:159]
	v_fma_f64 v[156:157], v[112:113], s[4:5], v[156:157]
	v_fma_f64 v[158:159], v[114:115], s[4:5], -v[158:159]
	v_fma_f64 v[196:197], v[112:113], s[16:17], -v[176:177]
	v_add_f64 v[170:171], v[170:171], v[178:179]
	v_mul_f64 v[178:179], v[182:183], s[36:37]
	v_fma_f64 v[186:187], v[114:115], s[20:21], -v[186:187]
	v_mul_f64 v[180:181], v[180:181], s[42:43]
	v_mul_f64 v[182:183], v[182:183], s[42:43]
	v_add_f64 v[156:157], v[156:157], v[162:163]
	v_add_f64 v[158:159], v[158:159], v[164:165]
	;; [unrolled: 1-line block ×3, first 2 shown]
	v_add_f64 v[164:165], v[106:107], -v[110:111]
	v_add_f64 v[166:167], v[104:105], -v[108:109]
	v_fma_f64 v[198:199], v[114:115], s[16:17], v[178:179]
	v_fma_f64 v[176:177], v[112:113], s[16:17], v[176:177]
	v_fma_f64 v[178:179], v[114:115], s[16:17], -v[178:179]
	v_add_f64 v[104:105], v[104:105], v[108:109]
	v_add_f64 v[106:107], v[106:107], v[110:111]
	v_add_f64 v[70:71], v[184:185], v[70:71]
	v_mul_f64 v[108:109], v[164:165], s[36:37]
	v_mul_f64 v[110:111], v[166:167], s[36:37]
	v_add_f64 v[136:137], v[186:187], v[136:137]
	v_fma_f64 v[184:185], v[112:113], s[22:23], -v[180:181]
	v_fma_f64 v[186:187], v[114:115], s[22:23], v[182:183]
	v_fma_f64 v[112:113], v[112:113], s[22:23], v[180:181]
	v_fma_f64 v[114:115], v[114:115], s[22:23], -v[182:183]
	v_add_f64 v[140:141], v[176:177], v[140:141]
	v_add_f64 v[142:143], v[178:179], v[142:143]
	v_fma_f64 v[176:177], v[104:105], s[16:17], -v[108:109]
	v_fma_f64 v[178:179], v[106:107], s[16:17], v[110:111]
	v_fma_f64 v[108:109], v[104:105], s[16:17], v[108:109]
	v_fma_f64 v[110:111], v[106:107], s[16:17], -v[110:111]
	v_add_f64 v[112:113], v[112:113], v[120:121]
	v_add_f64 v[114:115], v[114:115], v[122:123]
	v_mul_f64 v[120:121], v[164:165], s[44:45]
	v_mul_f64 v[122:123], v[166:167], s[44:45]
	v_add_f64 v[124:125], v[176:177], v[124:125]
	v_add_f64 v[126:127], v[178:179], v[126:127]
	v_mul_f64 v[176:177], v[164:165], s[50:51]
	v_mul_f64 v[178:179], v[166:167], s[50:51]
	v_add_f64 v[180:181], v[184:185], v[188:189]
	v_add_f64 v[182:183], v[186:187], v[190:191]
	v_fma_f64 v[184:185], v[104:105], s[26:27], -v[120:121]
	v_fma_f64 v[186:187], v[106:107], s[26:27], v[122:123]
	v_fma_f64 v[120:121], v[104:105], s[26:27], v[120:121]
	v_fma_f64 v[122:123], v[106:107], s[26:27], -v[122:123]
	v_add_f64 v[108:109], v[108:109], v[116:117]
	v_add_f64 v[110:111], v[110:111], v[118:119]
	v_fma_f64 v[116:117], v[104:105], s[18:19], -v[176:177]
	v_fma_f64 v[118:119], v[106:107], s[18:19], v[178:179]
	v_fma_f64 v[176:177], v[104:105], s[18:19], v[176:177]
	v_fma_f64 v[178:179], v[106:107], s[18:19], -v[178:179]
	v_add_f64 v[120:121], v[120:121], v[132:133]
	v_add_f64 v[122:123], v[122:123], v[134:135]
	v_mul_f64 v[132:133], v[164:165], s[52:53]
	v_mul_f64 v[134:135], v[166:167], s[52:53]
	v_add_f64 v[116:117], v[116:117], v[144:145]
	v_add_f64 v[118:119], v[118:119], v[146:147]
	v_mul_f64 v[144:145], v[164:165], s[34:35]
	v_mul_f64 v[146:147], v[166:167], s[34:35]
	v_add_f64 v[68:69], v[206:207], v[68:69]
	v_add_f64 v[128:129], v[184:185], v[128:129]
	;; [unrolled: 1-line block ×3, first 2 shown]
	v_fma_f64 v[184:185], v[104:105], s[4:5], -v[132:133]
	v_fma_f64 v[186:187], v[106:107], s[4:5], v[134:135]
	v_fma_f64 v[132:133], v[104:105], s[4:5], v[132:133]
	v_fma_f64 v[134:135], v[106:107], s[4:5], -v[134:135]
	v_fma_f64 v[188:189], v[104:105], s[12:13], -v[144:145]
	v_fma_f64 v[190:191], v[106:107], s[12:13], v[146:147]
	v_add_f64 v[152:153], v[176:177], v[152:153]
	v_add_f64 v[154:155], v[178:179], v[154:155]
	v_fma_f64 v[144:145], v[104:105], s[12:13], v[144:145]
	v_fma_f64 v[146:147], v[106:107], s[12:13], -v[146:147]
	v_mul_f64 v[176:177], v[164:165], s[58:59]
	v_mul_f64 v[178:179], v[166:167], s[58:59]
	v_add_f64 v[68:69], v[198:199], v[68:69]
	v_add_f64 v[132:133], v[132:133], v[148:149]
	v_add_f64 v[134:135], v[134:135], v[150:151]
	v_add_f64 v[148:149], v[188:189], v[168:169]
	v_add_f64 v[150:151], v[190:191], v[170:171]
	v_mul_f64 v[168:169], v[164:165], s[42:43]
	v_mul_f64 v[170:171], v[166:167], s[42:43]
	v_add_f64 v[70:71], v[144:145], v[70:71]
	v_add_f64 v[136:137], v[146:147], v[136:137]
	v_fma_f64 v[144:145], v[104:105], s[24:25], -v[176:177]
	v_fma_f64 v[146:147], v[106:107], s[24:25], v[178:179]
	v_add_f64 v[172:173], v[184:185], v[172:173]
	v_add_f64 v[174:175], v[186:187], v[174:175]
	v_fma_f64 v[184:185], v[104:105], s[22:23], -v[168:169]
	v_fma_f64 v[186:187], v[106:107], s[22:23], v[170:171]
	v_fma_f64 v[168:169], v[104:105], s[22:23], v[168:169]
	v_fma_f64 v[170:171], v[106:107], s[22:23], -v[170:171]
	v_mul_f64 v[164:165], v[164:165], s[54:55]
	v_mul_f64 v[166:167], v[166:167], s[54:55]
	v_add_f64 v[144:145], v[144:145], v[162:163]
	v_add_f64 v[68:69], v[146:147], v[68:69]
	v_add_f64 v[146:147], v[98:99], -v[102:103]
	v_add_f64 v[162:163], v[96:97], -v[100:101]
	v_add_f64 v[156:157], v[168:169], v[156:157]
	v_add_f64 v[158:159], v[170:171], v[158:159]
	v_fma_f64 v[168:169], v[104:105], s[24:25], v[176:177]
	v_fma_f64 v[170:171], v[106:107], s[24:25], -v[178:179]
	v_fma_f64 v[176:177], v[104:105], s[20:21], -v[164:165]
	v_fma_f64 v[178:179], v[106:107], s[20:21], v[166:167]
	v_add_f64 v[96:97], v[96:97], v[100:101]
	v_add_f64 v[98:99], v[98:99], v[102:103]
	v_mul_f64 v[100:101], v[146:147], s[38:39]
	v_mul_f64 v[102:103], v[162:163], s[38:39]
	v_fma_f64 v[104:105], v[104:105], s[20:21], v[164:165]
	v_fma_f64 v[106:107], v[106:107], s[20:21], -v[166:167]
	v_add_f64 v[140:141], v[168:169], v[140:141]
	v_add_f64 v[142:143], v[170:171], v[142:143]
	;; [unrolled: 1-line block ×4, first 2 shown]
	v_fma_f64 v[168:169], v[96:97], s[18:19], -v[100:101]
	v_fma_f64 v[170:171], v[98:99], s[18:19], v[102:103]
	v_add_f64 v[104:105], v[104:105], v[112:113]
	v_add_f64 v[106:107], v[106:107], v[114:115]
	v_mul_f64 v[112:113], v[146:147], s[48:49]
	v_mul_f64 v[114:115], v[162:163], s[48:49]
	v_fma_f64 v[100:101], v[96:97], s[18:19], v[100:101]
	v_fma_f64 v[102:103], v[98:99], s[18:19], -v[102:103]
	v_add_f64 v[124:125], v[168:169], v[124:125]
	v_add_f64 v[126:127], v[170:171], v[126:127]
	v_mul_f64 v[168:169], v[146:147], s[54:55]
	v_mul_f64 v[170:171], v[162:163], s[54:55]
	v_fma_f64 v[176:177], v[96:97], s[22:23], -v[112:113]
	v_fma_f64 v[178:179], v[98:99], s[22:23], v[114:115]
	v_add_f64 v[100:101], v[100:101], v[108:109]
	v_add_f64 v[102:103], v[102:103], v[110:111]
	v_fma_f64 v[108:109], v[96:97], s[22:23], v[112:113]
	v_fma_f64 v[110:111], v[98:99], s[22:23], -v[114:115]
	v_fma_f64 v[112:113], v[96:97], s[20:21], -v[168:169]
	v_fma_f64 v[114:115], v[98:99], s[20:21], v[170:171]
	v_add_f64 v[128:129], v[176:177], v[128:129]
	v_add_f64 v[130:131], v[178:179], v[130:131]
	v_mul_f64 v[176:177], v[146:147], s[34:35]
	v_mul_f64 v[178:179], v[162:163], s[34:35]
	v_add_f64 v[108:109], v[108:109], v[120:121]
	v_add_f64 v[110:111], v[110:111], v[122:123]
	;; [unrolled: 1-line block ×4, first 2 shown]
	v_fma_f64 v[116:117], v[96:97], s[20:21], v[168:169]
	v_fma_f64 v[118:119], v[98:99], s[20:21], -v[170:171]
	v_fma_f64 v[120:121], v[96:97], s[12:13], -v[176:177]
	v_fma_f64 v[122:123], v[98:99], s[12:13], v[178:179]
	v_mul_f64 v[168:169], v[146:147], s[44:45]
	v_mul_f64 v[170:171], v[162:163], s[44:45]
	s_mov_b32 s61, 0x3fefdd0d
	s_mov_b32 s60, s36
	v_fma_f64 v[176:177], v[96:97], s[12:13], v[176:177]
	v_fma_f64 v[178:179], v[98:99], s[12:13], -v[178:179]
	v_add_f64 v[116:117], v[116:117], v[152:153]
	v_add_f64 v[118:119], v[118:119], v[154:155]
	;; [unrolled: 1-line block ×4, first 2 shown]
	v_fma_f64 v[152:153], v[96:97], s[26:27], -v[168:169]
	v_fma_f64 v[154:155], v[98:99], s[26:27], v[170:171]
	v_mul_f64 v[172:173], v[146:147], s[60:61]
	v_mul_f64 v[174:175], v[162:163], s[60:61]
	v_add_f64 v[132:133], v[176:177], v[132:133]
	v_add_f64 v[134:135], v[178:179], v[134:135]
	v_fma_f64 v[168:169], v[96:97], s[26:27], v[168:169]
	v_fma_f64 v[170:171], v[98:99], s[26:27], -v[170:171]
	v_add_f64 v[148:149], v[152:153], v[148:149]
	v_add_f64 v[150:151], v[154:155], v[150:151]
	v_mul_f64 v[152:153], v[146:147], s[28:29]
	v_mul_f64 v[154:155], v[162:163], s[28:29]
	v_fma_f64 v[176:177], v[96:97], s[16:17], -v[172:173]
	v_fma_f64 v[178:179], v[98:99], s[16:17], v[174:175]
	v_fma_f64 v[172:173], v[96:97], s[16:17], v[172:173]
	v_fma_f64 v[174:175], v[98:99], s[16:17], -v[174:175]
	v_mul_f64 v[146:147], v[146:147], s[40:41]
	v_mul_f64 v[162:163], v[162:163], s[40:41]
	v_fma_f64 v[180:181], v[96:97], s[4:5], -v[152:153]
	v_fma_f64 v[182:183], v[98:99], s[4:5], v[154:155]
	v_add_f64 v[70:71], v[168:169], v[70:71]
	v_add_f64 v[136:137], v[170:171], v[136:137]
	;; [unrolled: 1-line block ×4, first 2 shown]
	v_add_f64 v[168:169], v[90:91], -v[94:95]
	v_add_f64 v[170:171], v[88:89], -v[92:93]
	v_fma_f64 v[152:153], v[96:97], s[4:5], v[152:153]
	v_fma_f64 v[154:155], v[98:99], s[4:5], -v[154:155]
	v_fma_f64 v[172:173], v[96:97], s[24:25], -v[146:147]
	v_fma_f64 v[174:175], v[98:99], s[24:25], v[162:163]
	v_fma_f64 v[96:97], v[96:97], s[24:25], v[146:147]
	v_fma_f64 v[98:99], v[98:99], s[24:25], -v[162:163]
	v_add_f64 v[88:89], v[88:89], v[92:93]
	v_add_f64 v[90:91], v[90:91], v[94:95]
	v_mul_f64 v[92:93], v[168:169], s[40:41]
	v_mul_f64 v[94:95], v[170:171], s[40:41]
	v_add_f64 v[140:141], v[152:153], v[140:141]
	v_add_f64 v[142:143], v[154:155], v[142:143]
	;; [unrolled: 1-line block ×4, first 2 shown]
	v_mul_f64 v[104:105], v[168:169], s[50:51]
	v_mul_f64 v[106:107], v[170:171], s[50:51]
	v_fma_f64 v[146:147], v[88:89], s[24:25], -v[92:93]
	v_fma_f64 v[152:153], v[90:91], s[24:25], v[94:95]
	v_add_f64 v[154:155], v[172:173], v[164:165]
	v_add_f64 v[162:163], v[174:175], v[166:167]
	v_fma_f64 v[92:93], v[88:89], s[24:25], v[92:93]
	v_fma_f64 v[94:95], v[90:91], s[24:25], -v[94:95]
	v_fma_f64 v[164:165], v[88:89], s[18:19], -v[104:105]
	v_fma_f64 v[166:167], v[90:91], s[18:19], v[106:107]
	v_fma_f64 v[104:105], v[88:89], s[18:19], v[104:105]
	v_fma_f64 v[106:107], v[90:91], s[18:19], -v[106:107]
	v_add_f64 v[124:125], v[146:147], v[124:125]
	v_add_f64 v[126:127], v[152:153], v[126:127]
	v_mul_f64 v[146:147], v[168:169], s[28:29]
	v_mul_f64 v[152:153], v[170:171], s[28:29]
	v_add_f64 v[138:139], v[200:201], v[138:139]
	v_add_f64 v[160:161], v[202:203], v[160:161]
	;; [unrolled: 1-line block ×4, first 2 shown]
	v_mul_f64 v[108:109], v[168:169], s[42:43]
	v_mul_f64 v[110:111], v[170:171], s[42:43]
	v_add_f64 v[92:93], v[92:93], v[100:101]
	v_add_f64 v[94:95], v[94:95], v[102:103]
	v_fma_f64 v[100:101], v[88:89], s[4:5], -v[146:147]
	v_fma_f64 v[102:103], v[90:91], s[4:5], v[152:153]
	v_add_f64 v[128:129], v[164:165], v[128:129]
	v_add_f64 v[130:131], v[166:167], v[130:131]
	v_fma_f64 v[164:165], v[88:89], s[22:23], -v[108:109]
	v_fma_f64 v[166:167], v[90:91], s[22:23], v[110:111]
	v_fma_f64 v[108:109], v[88:89], s[22:23], v[108:109]
	v_fma_f64 v[110:111], v[90:91], s[22:23], -v[110:111]
	v_add_f64 v[138:139], v[192:193], v[138:139]
	v_add_f64 v[160:161], v[194:195], v[160:161]
	;; [unrolled: 1-line block ×4, first 2 shown]
	v_fma_f64 v[112:113], v[88:89], s[4:5], v[146:147]
	v_fma_f64 v[114:115], v[90:91], s[4:5], -v[152:153]
	v_mul_f64 v[146:147], v[168:169], s[60:61]
	v_mul_f64 v[152:153], v[170:171], s[60:61]
	v_add_f64 v[108:109], v[108:109], v[132:133]
	v_add_f64 v[110:111], v[110:111], v[134:135]
	v_mul_f64 v[132:133], v[168:169], s[30:31]
	v_mul_f64 v[134:135], v[170:171], s[30:31]
	v_add_f64 v[138:139], v[184:185], v[138:139]
	v_add_f64 v[160:161], v[186:187], v[160:161]
	;; [unrolled: 1-line block ×4, first 2 shown]
	v_fma_f64 v[116:117], v[88:89], s[16:17], -v[146:147]
	v_fma_f64 v[118:119], v[90:91], s[16:17], v[152:153]
	v_add_f64 v[120:121], v[164:165], v[120:121]
	v_add_f64 v[122:123], v[166:167], v[122:123]
	v_fma_f64 v[152:153], v[90:91], s[16:17], -v[152:153]
	v_fma_f64 v[164:165], v[88:89], s[20:21], -v[132:133]
	v_fma_f64 v[166:167], v[90:91], s[20:21], v[134:135]
	v_fma_f64 v[132:133], v[88:89], s[20:21], v[132:133]
	v_fma_f64 v[134:135], v[90:91], s[20:21], -v[134:135]
	v_add_f64 v[138:139], v[176:177], v[138:139]
	v_add_f64 v[160:161], v[178:179], v[160:161]
	;; [unrolled: 1-line block ×4, first 2 shown]
	v_mul_f64 v[148:149], v[168:169], s[44:45]
	v_mul_f64 v[150:151], v[170:171], s[44:45]
	v_fma_f64 v[146:147], v[88:89], s[16:17], v[146:147]
	v_add_f64 v[136:137], v[152:153], v[136:137]
	v_add_f64 v[132:133], v[132:133], v[156:157]
	;; [unrolled: 1-line block ×3, first 2 shown]
	v_add_f64 v[152:153], v[82:83], -v[86:87]
	v_add_f64 v[156:157], v[80:81], -v[84:85]
	v_mul_f64 v[158:159], v[168:169], s[46:47]
	v_fma_f64 v[172:173], v[88:89], s[26:27], -v[148:149]
	v_fma_f64 v[174:175], v[90:91], s[26:27], v[150:151]
	v_add_f64 v[70:71], v[146:147], v[70:71]
	v_add_f64 v[138:139], v[164:165], v[138:139]
	;; [unrolled: 1-line block ×3, first 2 shown]
	v_mul_f64 v[160:161], v[170:171], s[46:47]
	v_fma_f64 v[148:149], v[88:89], s[26:27], v[148:149]
	v_fma_f64 v[150:151], v[90:91], s[26:27], -v[150:151]
	v_add_f64 v[80:81], v[80:81], v[84:85]
	v_add_f64 v[82:83], v[82:83], v[86:87]
	v_mul_f64 v[84:85], v[152:153], s[42:43]
	v_mul_f64 v[86:87], v[156:157], s[42:43]
	v_fma_f64 v[164:165], v[88:89], s[12:13], -v[158:159]
	v_fma_f64 v[88:89], v[88:89], s[12:13], v[158:159]
	v_fma_f64 v[166:167], v[90:91], s[12:13], v[160:161]
	v_add_f64 v[140:141], v[148:149], v[140:141]
	v_add_f64 v[142:143], v[150:151], v[142:143]
	v_fma_f64 v[90:91], v[90:91], s[12:13], -v[160:161]
	v_fma_f64 v[148:149], v[80:81], s[22:23], -v[84:85]
	v_fma_f64 v[150:151], v[82:83], s[22:23], v[86:87]
	v_mul_f64 v[160:161], v[152:153], s[46:47]
	v_add_f64 v[88:89], v[88:89], v[96:97]
	v_mul_f64 v[96:97], v[156:157], s[46:47]
	v_add_f64 v[158:159], v[166:167], v[162:163]
	v_fma_f64 v[84:85], v[80:81], s[22:23], v[84:85]
	v_add_f64 v[90:91], v[90:91], v[98:99]
	v_add_f64 v[98:99], v[148:149], v[124:125]
	;; [unrolled: 1-line block ×3, first 2 shown]
	v_fma_f64 v[86:87], v[82:83], s[22:23], -v[86:87]
	v_fma_f64 v[126:127], v[80:81], s[12:13], -v[160:161]
	v_mul_f64 v[148:149], v[152:153], s[36:37]
	v_fma_f64 v[150:151], v[82:83], s[12:13], v[96:97]
	v_mul_f64 v[162:163], v[156:157], s[36:37]
	v_fma_f64 v[96:97], v[82:83], s[12:13], -v[96:97]
	v_fma_f64 v[160:161], v[80:81], s[12:13], v[160:161]
	v_add_f64 v[84:85], v[84:85], v[92:93]
	v_add_f64 v[86:87], v[86:87], v[94:95]
	v_add_f64 v[92:93], v[126:127], v[128:129]
	v_fma_f64 v[94:95], v[80:81], s[16:17], -v[148:149]
	v_add_f64 v[126:127], v[150:151], v[130:131]
	v_fma_f64 v[128:129], v[82:83], s[16:17], v[162:163]
	v_add_f64 v[96:97], v[96:97], v[106:107]
	v_mul_f64 v[106:107], v[152:153], s[58:59]
	v_add_f64 v[104:105], v[160:161], v[104:105]
	v_mul_f64 v[130:131], v[156:157], s[58:59]
	v_fma_f64 v[148:149], v[80:81], s[16:17], v[148:149]
	v_add_f64 v[94:95], v[94:95], v[100:101]
	v_fma_f64 v[100:101], v[82:83], s[16:17], -v[162:163]
	v_add_f64 v[102:103], v[128:129], v[102:103]
	v_mul_f64 v[128:129], v[152:153], s[28:29]
	v_mul_f64 v[150:151], v[156:157], s[28:29]
	v_fma_f64 v[160:161], v[80:81], s[24:25], -v[106:107]
	v_fma_f64 v[106:107], v[80:81], s[24:25], v[106:107]
	v_fma_f64 v[162:163], v[82:83], s[24:25], v[130:131]
	v_add_f64 v[112:113], v[148:149], v[112:113]
	v_add_f64 v[100:101], v[100:101], v[114:115]
	v_fma_f64 v[114:115], v[82:83], s[24:25], -v[130:131]
	v_fma_f64 v[130:131], v[80:81], s[4:5], -v[128:129]
	v_fma_f64 v[148:149], v[82:83], s[4:5], v[150:151]
	v_add_f64 v[120:121], v[160:161], v[120:121]
	v_mul_f64 v[160:161], v[152:153], s[44:45]
	v_add_f64 v[108:109], v[106:107], v[108:109]
	v_mul_f64 v[106:107], v[156:157], s[44:45]
	v_add_f64 v[144:145], v[180:181], v[144:145]
	v_add_f64 v[68:69], v[182:183], v[68:69]
	;; [unrolled: 1-line block ×6, first 2 shown]
	v_fma_f64 v[118:119], v[80:81], s[4:5], v[128:129]
	v_fma_f64 v[128:129], v[82:83], s[4:5], -v[150:151]
	v_fma_f64 v[130:131], v[80:81], s[26:27], -v[160:161]
	v_mul_f64 v[148:149], v[152:153], s[54:55]
	v_fma_f64 v[150:151], v[82:83], s[26:27], v[106:107]
	v_fma_f64 v[160:161], v[80:81], s[26:27], v[160:161]
	v_mul_f64 v[162:163], v[156:157], s[54:55]
	v_fma_f64 v[106:107], v[82:83], s[26:27], -v[106:107]
	v_add_f64 v[144:145], v[172:173], v[144:145]
	v_add_f64 v[68:69], v[174:175], v[68:69]
	;; [unrolled: 1-line block ×5, first 2 shown]
	v_fma_f64 v[70:71], v[80:81], s[20:21], -v[148:149]
	v_add_f64 v[136:137], v[150:151], v[146:147]
	v_add_f64 v[138:139], v[160:161], v[132:133]
	v_fma_f64 v[132:133], v[82:83], s[20:21], v[162:163]
	v_add_f64 v[134:135], v[106:107], v[134:135]
	v_mul_f64 v[106:107], v[152:153], s[38:39]
	v_mul_f64 v[146:147], v[156:157], s[38:39]
	v_add_f64 v[156:157], v[74:75], -v[78:79]
	v_add_f64 v[154:155], v[164:165], v[154:155]
	v_add_f64 v[144:145], v[70:71], v[144:145]
	v_fma_f64 v[70:71], v[82:83], s[20:21], -v[162:163]
	v_add_f64 v[152:153], v[132:133], v[68:69]
	v_add_f64 v[167:168], v[72:73], -v[76:77]
	v_fma_f64 v[68:69], v[80:81], s[18:19], -v[106:107]
	v_add_f64 v[169:170], v[72:73], v[76:77]
	v_mul_f64 v[72:73], v[156:157], s[44:45]
	v_add_f64 v[132:133], v[74:75], v[78:79]
	v_fma_f64 v[74:75], v[82:83], s[18:19], -v[146:147]
	v_add_f64 v[142:143], v[70:71], v[142:143]
	v_mul_f64 v[78:79], v[156:157], s[52:53]
	v_mul_f64 v[70:71], v[167:168], s[44:45]
	v_add_f64 v[154:155], v[68:69], v[154:155]
	v_fma_f64 v[68:69], v[80:81], s[18:19], v[106:107]
	v_fma_f64 v[76:77], v[169:170], s[26:27], -v[72:73]
	v_mul_f64 v[106:107], v[167:168], s[52:53]
	v_fma_f64 v[72:73], v[169:170], s[26:27], v[72:73]
	v_fma_f64 v[148:149], v[80:81], s[20:21], v[148:149]
	;; [unrolled: 1-line block ×4, first 2 shown]
	v_fma_f64 v[146:147], v[132:133], s[26:27], -v[70:71]
	v_add_f64 v[70:71], v[74:75], v[90:91]
	v_add_f64 v[80:81], v[76:77], v[98:99]
	v_fma_f64 v[76:77], v[169:170], s[4:5], -v[78:79]
	v_fma_f64 v[90:91], v[132:133], s[4:5], v[106:107]
	v_add_f64 v[72:73], v[72:73], v[84:85]
	v_mul_f64 v[84:85], v[156:157], s[42:43]
	v_add_f64 v[68:69], v[68:69], v[88:89]
	v_add_f64 v[82:83], v[82:83], v[124:125]
	;; [unrolled: 1-line block ×3, first 2 shown]
	v_mul_f64 v[86:87], v[167:168], s[42:43]
	v_fma_f64 v[78:79], v[169:170], s[4:5], v[78:79]
	v_add_f64 v[88:89], v[76:77], v[92:93]
	v_add_f64 v[90:91], v[90:91], v[126:127]
	v_fma_f64 v[92:93], v[132:133], s[4:5], -v[106:107]
	v_mul_f64 v[124:125], v[156:157], s[54:55]
	v_mul_f64 v[126:127], v[167:168], s[54:55]
	v_fma_f64 v[98:99], v[169:170], s[22:23], -v[84:85]
	v_fma_f64 v[106:107], v[132:133], s[22:23], v[86:87]
	v_add_f64 v[76:77], v[78:79], v[104:105]
	v_fma_f64 v[84:85], v[169:170], s[22:23], v[84:85]
	v_fma_f64 v[86:87], v[132:133], s[22:23], -v[86:87]
	v_add_f64 v[78:79], v[92:93], v[96:97]
	v_fma_f64 v[92:93], v[169:170], s[20:21], -v[124:125]
	v_fma_f64 v[146:147], v[132:133], s[20:21], v[126:127]
	v_add_f64 v[96:97], v[98:99], v[94:95]
	v_mul_f64 v[94:95], v[156:157], s[40:41]
	v_add_f64 v[98:99], v[106:107], v[102:103]
	v_add_f64 v[84:85], v[84:85], v[112:113]
	;; [unrolled: 1-line block ×3, first 2 shown]
	v_mul_f64 v[100:101], v[167:168], s[40:41]
	v_add_f64 v[104:105], v[92:93], v[120:121]
	v_add_f64 v[106:107], v[146:147], v[122:123]
	v_fma_f64 v[92:93], v[169:170], s[20:21], v[124:125]
	v_fma_f64 v[102:103], v[132:133], s[20:21], -v[126:127]
	v_fma_f64 v[112:113], v[169:170], s[24:25], -v[94:95]
	v_mul_f64 v[120:121], v[156:157], s[46:47]
	v_mul_f64 v[122:123], v[167:168], s[46:47]
	v_fma_f64 v[126:127], v[169:170], s[24:25], v[94:95]
	v_fma_f64 v[124:125], v[132:133], s[24:25], v[100:101]
	v_fma_f64 v[146:147], v[132:133], s[24:25], -v[100:101]
	v_add_f64 v[92:93], v[92:93], v[108:109]
	v_add_f64 v[217:218], v[58:59], -v[46:47]
	v_add_f64 v[108:109], v[112:113], v[114:115]
	v_fma_f64 v[112:113], v[169:170], s[12:13], -v[120:121]
	v_fma_f64 v[114:115], v[132:133], s[12:13], v[122:123]
	v_add_f64 v[100:101], v[126:127], v[118:119]
	v_add_f64 v[193:194], v[56:57], -v[44:45]
	v_fma_f64 v[118:119], v[132:133], s[12:13], -v[122:123]
	v_add_f64 v[225:226], v[62:63], -v[42:43]
	v_add_f64 v[219:220], v[60:61], -v[40:41]
	v_add_f64 v[94:95], v[102:103], v[110:111]
	v_add_f64 v[102:103], v[146:147], v[128:129]
	;; [unrolled: 1-line block ×4, first 2 shown]
	v_mul_f64 v[128:129], v[217:218], s[28:29]
	v_mul_f64 v[130:131], v[193:194], s[28:29]
	v_add_f64 v[118:119], v[118:119], v[134:135]
	v_mul_f64 v[134:135], v[225:226], s[30:31]
	v_mul_f64 v[136:137], v[219:220], s[30:31]
	buffer_store_dword v128, off, s[64:67], 0 offset:420 ; 4-byte Folded Spill
	s_nop 0
	buffer_store_dword v129, off, s[64:67], 0 offset:424 ; 4-byte Folded Spill
	buffer_store_dword v130, off, s[64:67], 0 offset:436 ; 4-byte Folded Spill
	s_nop 0
	buffer_store_dword v131, off, s[64:67], 0 offset:440 ; 4-byte Folded Spill
	buffer_store_dword v134, off, s[64:67], 0 offset:452 ; 4-byte Folded Spill
	s_nop 0
	buffer_store_dword v135, off, s[64:67], 0 offset:456 ; 4-byte Folded Spill
	buffer_store_dword v136, off, s[64:67], 0 offset:468 ; 4-byte Folded Spill
	s_nop 0
	buffer_store_dword v137, off, s[64:67], 0 offset:472 ; 4-byte Folded Spill
	v_add_f64 v[110:111], v[124:125], v[116:117]
	v_mul_f64 v[124:125], v[156:157], s[38:39]
	v_add_f64 v[140:141], v[148:149], v[140:141]
	v_fma_f64 v[116:117], v[169:170], s[12:13], v[120:121]
	v_add_f64 v[161:162], v[62:63], v[42:43]
	v_add_f64 v[249:250], v[66:67], -v[38:39]
	v_add_f64 v[237:238], v[64:65], -v[36:37]
	;; [unrolled: 1-line block ×3, first 2 shown]
	v_mul_f64 v[126:127], v[167:168], s[38:39]
	v_fma_f64 v[120:121], v[169:170], s[18:19], -v[124:125]
	v_fma_f64 v[124:125], v[169:170], s[18:19], v[124:125]
	v_add_f64 v[116:117], v[116:117], v[138:139]
	v_add_f64 v[158:159], v[150:151], v[158:159]
	;; [unrolled: 1-line block ×4, first 2 shown]
	v_mul_f64 v[177:178], v[251:252], s[36:37]
	v_fma_f64 v[122:123], v[132:133], s[18:19], v[126:127]
	v_add_f64 v[120:121], v[120:121], v[144:145]
	v_add_f64 v[124:125], v[124:125], v[140:141]
	v_mul_f64 v[140:141], v[249:250], s[34:35]
	v_mul_f64 v[144:145], v[237:238], s[34:35]
	buffer_store_dword v140, off, s[64:67], 0 offset:484 ; 4-byte Folded Spill
	s_nop 0
	buffer_store_dword v141, off, s[64:67], 0 offset:488 ; 4-byte Folded Spill
	buffer_store_dword v144, off, s[64:67], 0 offset:500 ; 4-byte Folded Spill
	s_nop 0
	buffer_store_dword v145, off, s[64:67], 0 offset:504 ; 4-byte Folded Spill
	v_add_f64 v[122:123], v[122:123], v[152:153]
	v_add_f64 v[152:153], v[60:61], v[40:41]
	;; [unrolled: 1-line block ×4, first 2 shown]
	v_fma_f64 v[126:127], v[132:133], s[18:19], -v[126:127]
	v_add_f64 v[173:174], v[54:55], v[34:35]
	v_add_f64 v[171:172], v[52:53], v[32:33]
	;; [unrolled: 1-line block ×4, first 2 shown]
	v_add_f64 v[185:186], v[14:15], -v[26:27]
	v_add_f64 v[221:222], v[6:7], -v[22:23]
	;; [unrolled: 1-line block ×3, first 2 shown]
	v_add_f64 v[126:127], v[126:127], v[142:143]
	v_mul_f64 v[142:143], v[156:157], s[60:61]
	v_mul_f64 v[156:157], v[167:168], s[60:61]
	v_add_f64 v[189:190], v[12:13], v[24:25]
	v_add_f64 v[191:192], v[14:15], v[26:27]
	;; [unrolled: 1-line block ×4, first 2 shown]
	v_add_f64 v[245:246], v[10:11], -v[18:19]
	v_add_f64 v[243:244], v[8:9], -v[16:17]
	v_fma_f64 v[146:147], v[169:170], s[16:17], -v[142:143]
	v_add_f64 v[213:214], v[8:9], v[16:17]
	v_add_f64 v[215:216], v[10:11], v[18:19]
	v_fma_f64 v[142:143], v[169:170], s[16:17], v[142:143]
	v_mul_f64 v[211:212], v[193:194], s[40:41]
	v_mul_f64 v[223:224], v[219:220], s[50:51]
	v_mul_f64 v[233:234], v[237:238], s[28:29]
	v_mul_f64 v[231:232], v[251:252], s[42:43]
	v_mul_f64 v[241:242], v[203:204], s[44:45]
	v_mul_f64 v[247:248], v[243:244], s[46:47]
	v_mul_f64 v[169:170], v[237:238], s[36:37]
	v_add_f64 v[205:206], v[142:143], v[68:69]
	v_mul_f64 v[142:143], v[193:194], s[30:31]
	v_fma_f64 v[128:129], v[148:149], s[4:5], v[128:129]
	v_fma_f64 v[130:131], v[150:151], s[4:5], -v[130:131]
	v_fma_f64 v[134:135], v[152:153], s[20:21], v[134:135]
	v_fma_f64 v[138:139], v[161:162], s[20:21], -v[136:137]
	v_add_f64 v[136:137], v[54:55], -v[34:35]
	v_add_f64 v[128:129], v[0:1], v[128:129]
	v_add_f64 v[130:131], v[2:3], v[130:131]
	v_mul_f64 v[175:176], v[136:137], s[36:37]
	buffer_store_dword v175, off, s[64:67], 0 offset:516 ; 4-byte Folded Spill
	s_nop 0
	buffer_store_dword v176, off, s[64:67], 0 offset:520 ; 4-byte Folded Spill
	buffer_store_dword v177, off, s[64:67], 0 offset:532 ; 4-byte Folded Spill
	s_nop 0
	buffer_store_dword v178, off, s[64:67], 0 offset:536 ; 4-byte Folded Spill
	v_add_f64 v[128:129], v[134:135], v[128:129]
	v_add_f64 v[130:131], v[138:139], v[130:131]
	v_mul_f64 v[253:254], v[136:137], s[58:59]
	v_fma_f64 v[134:135], v[163:164], s[12:13], v[140:141]
	v_fma_f64 v[138:139], v[165:166], s[12:13], -v[144:145]
	v_add_f64 v[144:145], v[50:51], -v[30:31]
	v_add_f64 v[140:141], v[48:49], -v[28:29]
	v_add_f64 v[134:135], v[134:135], v[128:129]
	v_add_f64 v[130:131], v[138:139], v[130:131]
	;; [unrolled: 1-line block ×3, first 2 shown]
	v_mul_f64 v[183:184], v[140:141], s[38:39]
	v_fma_f64 v[146:147], v[132:133], s[16:17], v[156:157]
	v_fma_f64 v[132:133], v[132:133], s[16:17], -v[156:157]
	v_mul_f64 v[156:157], v[217:218], s[30:31]
	v_mul_f64 v[235:236], v[140:141], s[60:61]
	v_add_f64 v[207:208], v[132:133], v[70:71]
	v_fma_f64 v[138:139], v[171:172], s[16:17], v[175:176]
	v_fma_f64 v[167:168], v[173:174], s[16:17], -v[177:178]
	v_mul_f64 v[177:178], v[144:145], s[38:39]
	buffer_store_dword v177, off, s[64:67], 0 offset:548 ; 4-byte Folded Spill
	s_nop 0
	buffer_store_dword v178, off, s[64:67], 0 offset:552 ; 4-byte Folded Spill
	buffer_store_dword v183, off, s[64:67], 0 offset:564 ; 4-byte Folded Spill
	s_nop 0
	buffer_store_dword v184, off, s[64:67], 0 offset:568 ; 4-byte Folded Spill
	v_add_f64 v[175:176], v[12:13], -v[24:25]
	v_add_f64 v[134:135], v[138:139], v[134:135]
	v_add_f64 v[138:139], v[167:168], v[130:131]
	;; [unrolled: 1-line block ×3, first 2 shown]
	v_mul_f64 v[158:159], v[221:222], s[42:43]
	v_mul_f64 v[239:240], v[175:176], s[30:31]
	v_fma_f64 v[154:155], v[179:180], s[18:19], v[177:178]
	v_fma_f64 v[167:168], v[181:182], s[18:19], -v[183:184]
	v_mul_f64 v[177:178], v[185:186], s[40:41]
	v_mul_f64 v[183:184], v[175:176], s[40:41]
	buffer_store_dword v177, off, s[64:67], 0 offset:580 ; 4-byte Folded Spill
	s_nop 0
	buffer_store_dword v178, off, s[64:67], 0 offset:584 ; 4-byte Folded Spill
	v_add_f64 v[138:139], v[167:168], v[138:139]
	buffer_store_dword v183, off, s[64:67], 0 offset:596 ; 4-byte Folded Spill
	s_nop 0
	buffer_store_dword v184, off, s[64:67], 0 offset:600 ; 4-byte Folded Spill
	v_mul_f64 v[167:168], v[203:204], s[42:43]
	buffer_store_dword v158, off, s[64:67], 0 offset:628 ; 4-byte Folded Spill
	s_nop 0
	buffer_store_dword v159, off, s[64:67], 0 offset:632 ; 4-byte Folded Spill
	buffer_store_dword v167, off, s[64:67], 0 offset:644 ; 4-byte Folded Spill
	s_nop 0
	buffer_store_dword v168, off, s[64:67], 0 offset:648 ; 4-byte Folded Spill
	v_add_f64 v[134:135], v[154:155], v[134:135]
	buffer_store_dword v156, off, s[64:67], 0 offset:660 ; 4-byte Folded Spill
	s_nop 0
	buffer_store_dword v157, off, s[64:67], 0 offset:664 ; 4-byte Folded Spill
	v_fma_f64 v[146:147], v[189:190], s[24:25], v[177:178]
	v_mul_f64 v[177:178], v[140:141], s[28:29]
	v_fma_f64 v[154:155], v[191:192], s[24:25], -v[183:184]
	v_add_f64 v[134:135], v[146:147], v[134:135]
	v_fma_f64 v[146:147], v[195:196], s[22:23], v[158:159]
	v_add_f64 v[138:139], v[154:155], v[138:139]
	v_fma_f64 v[154:155], v[197:198], s[22:23], -v[167:168]
	v_mul_f64 v[158:159], v[245:246], s[44:45]
	v_mul_f64 v[167:168], v[243:244], s[44:45]
	buffer_store_dword v158, off, s[64:67], 0 offset:676 ; 4-byte Folded Spill
	s_nop 0
	buffer_store_dword v159, off, s[64:67], 0 offset:680 ; 4-byte Folded Spill
	buffer_store_dword v167, off, s[64:67], 0 offset:692 ; 4-byte Folded Spill
	s_nop 0
	buffer_store_dword v168, off, s[64:67], 0 offset:696 ; 4-byte Folded Spill
	v_add_f64 v[70:71], v[146:147], v[134:135]
	v_add_f64 v[132:133], v[154:155], v[138:139]
	v_fma_f64 v[68:69], v[148:149], s[20:21], v[156:157]
	v_mul_f64 v[146:147], v[225:226], s[36:37]
	buffer_store_dword v142, off, s[64:67], 0 offset:892 ; 4-byte Folded Spill
	s_nop 0
	buffer_store_dword v143, off, s[64:67], 0 offset:896 ; 4-byte Folded Spill
	v_add_f64 v[68:69], v[0:1], v[68:69]
	v_fma_f64 v[134:135], v[213:214], s[26:27], v[158:159]
	v_fma_f64 v[138:139], v[215:216], s[26:27], -v[167:168]
	v_mul_f64 v[158:159], v[219:220], s[46:47]
	v_mul_f64 v[167:168], v[251:252], s[58:59]
	v_fma_f64 v[142:143], v[150:151], s[20:21], -v[142:143]
	v_add_f64 v[154:155], v[134:135], v[70:71]
	v_add_f64 v[156:157], v[138:139], v[132:133]
	buffer_store_dword v154, off, s[64:67], 0 offset:4 ; 4-byte Folded Spill
	s_nop 0
	buffer_store_dword v155, off, s[64:67], 0 offset:8 ; 4-byte Folded Spill
	buffer_store_dword v156, off, s[64:67], 0 offset:12 ; 4-byte Folded Spill
	;; [unrolled: 1-line block ×4, first 2 shown]
	s_nop 0
	buffer_store_dword v147, off, s[64:67], 0 offset:704 ; 4-byte Folded Spill
	v_mul_f64 v[134:135], v[219:220], s[36:37]
	buffer_store_dword v134, off, s[64:67], 0 offset:924 ; 4-byte Folded Spill
	s_nop 0
	buffer_store_dword v135, off, s[64:67], 0 offset:928 ; 4-byte Folded Spill
	v_add_f64 v[132:133], v[2:3], v[142:143]
	v_mul_f64 v[156:157], v[245:246], s[46:47]
	v_mul_f64 v[154:155], v[193:194], s[42:43]
	v_fma_f64 v[138:139], v[161:162], s[12:13], -v[158:159]
	v_fma_f64 v[70:71], v[152:153], s[16:17], v[146:147]
	v_add_f64 v[68:69], v[70:71], v[68:69]
	v_fma_f64 v[70:71], v[161:162], s[16:17], -v[134:135]
	v_add_f64 v[70:71], v[70:71], v[132:133]
	v_mul_f64 v[132:133], v[249:250], s[40:41]
	buffer_store_dword v132, off, s[64:67], 0 offset:748 ; 4-byte Folded Spill
	s_nop 0
	buffer_store_dword v133, off, s[64:67], 0 offset:752 ; 4-byte Folded Spill
	v_fma_f64 v[132:133], v[163:164], s[24:25], v[132:133]
	v_add_f64 v[68:69], v[132:133], v[68:69]
	v_mul_f64 v[132:133], v[237:238], s[40:41]
	buffer_store_dword v132, off, s[64:67], 0 offset:908 ; 4-byte Folded Spill
	s_nop 0
	buffer_store_dword v133, off, s[64:67], 0 offset:912 ; 4-byte Folded Spill
	v_fma_f64 v[132:133], v[165:166], s[24:25], -v[132:133]
	v_add_f64 v[70:71], v[132:133], v[70:71]
	v_mul_f64 v[132:133], v[136:137], s[44:45]
	buffer_store_dword v132, off, s[64:67], 0 offset:740 ; 4-byte Folded Spill
	s_nop 0
	buffer_store_dword v133, off, s[64:67], 0 offset:744 ; 4-byte Folded Spill
	v_fma_f64 v[132:133], v[171:172], s[26:27], v[132:133]
	v_add_f64 v[68:69], v[132:133], v[68:69]
	v_mul_f64 v[132:133], v[251:252], s[44:45]
	buffer_store_dword v132, off, s[64:67], 0 offset:844 ; 4-byte Folded Spill
	s_nop 0
	buffer_store_dword v133, off, s[64:67], 0 offset:848 ; 4-byte Folded Spill
	;; [unrolled: 12-line block ×6, first 2 shown]
	v_fma_f64 v[68:69], v[215:216], s[4:5], -v[68:69]
	v_add_f64 v[134:135], v[68:69], v[70:71]
	v_mul_f64 v[68:69], v[217:218], s[34:35]
	buffer_store_dword v132, off, s[64:67], 0 offset:20 ; 4-byte Folded Spill
	s_nop 0
	buffer_store_dword v133, off, s[64:67], 0 offset:24 ; 4-byte Folded Spill
	buffer_store_dword v134, off, s[64:67], 0 offset:28 ; 4-byte Folded Spill
	;; [unrolled: 1-line block ×4, first 2 shown]
	s_nop 0
	buffer_store_dword v69, off, s[64:67], 0 offset:992 ; 4-byte Folded Spill
	v_mul_f64 v[70:71], v[225:226], s[40:41]
	buffer_store_dword v70, off, s[64:67], 0 offset:972 ; 4-byte Folded Spill
	s_nop 0
	buffer_store_dword v71, off, s[64:67], 0 offset:976 ; 4-byte Folded Spill
	v_mul_f64 v[132:133], v[219:220], s[40:41]
	v_fma_f64 v[68:69], v[148:149], s[12:13], v[68:69]
	v_add_f64 v[68:69], v[0:1], v[68:69]
	v_fma_f64 v[70:71], v[152:153], s[24:25], v[70:71]
	v_add_f64 v[68:69], v[70:71], v[68:69]
	v_mul_f64 v[70:71], v[193:194], s[34:35]
	buffer_store_dword v70, off, s[64:67], 0 offset:1068 ; 4-byte Folded Spill
	s_nop 0
	buffer_store_dword v71, off, s[64:67], 0 offset:1072 ; 4-byte Folded Spill
	buffer_store_dword v132, off, s[64:67], 0 offset:1084 ; 4-byte Folded Spill
	s_nop 0
	buffer_store_dword v133, off, s[64:67], 0 offset:1088 ; 4-byte Folded Spill
	v_fma_f64 v[70:71], v[150:151], s[12:13], -v[70:71]
	v_fma_f64 v[132:133], v[161:162], s[24:25], -v[132:133]
	v_add_f64 v[70:71], v[2:3], v[70:71]
	v_add_f64 v[70:71], v[132:133], v[70:71]
	v_mul_f64 v[132:133], v[249:250], s[56:57]
	buffer_store_dword v132, off, s[64:67], 0 offset:956 ; 4-byte Folded Spill
	s_nop 0
	buffer_store_dword v133, off, s[64:67], 0 offset:960 ; 4-byte Folded Spill
	v_fma_f64 v[132:133], v[163:164], s[26:27], v[132:133]
	v_add_f64 v[68:69], v[132:133], v[68:69]
	v_mul_f64 v[132:133], v[237:238], s[56:57]
	buffer_store_dword v132, off, s[64:67], 0 offset:1136 ; 4-byte Folded Spill
	s_nop 0
	buffer_store_dword v133, off, s[64:67], 0 offset:1140 ; 4-byte Folded Spill
	v_fma_f64 v[132:133], v[165:166], s[26:27], -v[132:133]
	v_add_f64 v[70:71], v[132:133], v[70:71]
	v_mul_f64 v[132:133], v[136:137], s[50:51]
	buffer_store_dword v132, off, s[64:67], 0 offset:1004 ; 4-byte Folded Spill
	s_nop 0
	buffer_store_dword v133, off, s[64:67], 0 offset:1008 ; 4-byte Folded Spill
	v_fma_f64 v[132:133], v[171:172], s[18:19], v[132:133]
	v_add_f64 v[68:69], v[132:133], v[68:69]
	v_mul_f64 v[132:133], v[251:252], s[50:51]
	buffer_store_dword v132, off, s[64:67], 0 offset:1116 ; 4-byte Folded Spill
	s_nop 0
	buffer_store_dword v133, off, s[64:67], 0 offset:1120 ; 4-byte Folded Spill
	v_fma_f64 v[132:133], v[173:174], s[18:19], -v[132:133]
	;; [unrolled: 12-line block ×6, first 2 shown]
	v_add_f64 v[134:135], v[68:69], v[70:71]
	v_mul_f64 v[68:69], v[217:218], s[36:37]
	buffer_store_dword v132, off, s[64:67], 0 offset:36 ; 4-byte Folded Spill
	s_nop 0
	buffer_store_dword v133, off, s[64:67], 0 offset:40 ; 4-byte Folded Spill
	buffer_store_dword v134, off, s[64:67], 0 offset:44 ; 4-byte Folded Spill
	;; [unrolled: 1-line block ×4, first 2 shown]
	s_nop 0
	buffer_store_dword v69, off, s[64:67], 0 offset:1164 ; 4-byte Folded Spill
	v_mul_f64 v[70:71], v[225:226], s[44:45]
	buffer_store_dword v70, off, s[64:67], 0 offset:1168 ; 4-byte Folded Spill
	s_nop 0
	buffer_store_dword v71, off, s[64:67], 0 offset:1172 ; 4-byte Folded Spill
	v_mul_f64 v[132:133], v[219:220], s[44:45]
	v_fma_f64 v[68:69], v[148:149], s[16:17], v[68:69]
	v_add_f64 v[68:69], v[0:1], v[68:69]
	v_fma_f64 v[70:71], v[152:153], s[26:27], v[70:71]
	v_add_f64 v[68:69], v[70:71], v[68:69]
	v_mul_f64 v[70:71], v[193:194], s[36:37]
	buffer_store_dword v70, off, s[64:67], 0 offset:1232 ; 4-byte Folded Spill
	s_nop 0
	buffer_store_dword v71, off, s[64:67], 0 offset:1236 ; 4-byte Folded Spill
	buffer_store_dword v132, off, s[64:67], 0 offset:1240 ; 4-byte Folded Spill
	s_nop 0
	buffer_store_dword v133, off, s[64:67], 0 offset:1244 ; 4-byte Folded Spill
	v_fma_f64 v[70:71], v[150:151], s[16:17], -v[70:71]
	v_fma_f64 v[132:133], v[161:162], s[26:27], -v[132:133]
	v_add_f64 v[70:71], v[2:3], v[70:71]
	v_add_f64 v[70:71], v[132:133], v[70:71]
	v_mul_f64 v[132:133], v[249:250], s[50:51]
	buffer_store_dword v132, off, s[64:67], 0 offset:1216 ; 4-byte Folded Spill
	s_nop 0
	buffer_store_dword v133, off, s[64:67], 0 offset:1220 ; 4-byte Folded Spill
	v_fma_f64 v[132:133], v[163:164], s[18:19], v[132:133]
	v_add_f64 v[68:69], v[132:133], v[68:69]
	v_mul_f64 v[132:133], v[237:238], s[50:51]
	buffer_store_dword v132, off, s[64:67], 0 offset:1264 ; 4-byte Folded Spill
	s_nop 0
	buffer_store_dword v133, off, s[64:67], 0 offset:1268 ; 4-byte Folded Spill
	v_fma_f64 v[132:133], v[165:166], s[18:19], -v[132:133]
	v_add_f64 v[70:71], v[132:133], v[70:71]
	v_mul_f64 v[132:133], v[136:137], s[52:53]
	buffer_store_dword v132, off, s[64:67], 0 offset:1200 ; 4-byte Folded Spill
	s_nop 0
	buffer_store_dword v133, off, s[64:67], 0 offset:1204 ; 4-byte Folded Spill
	v_fma_f64 v[132:133], v[171:172], s[4:5], v[132:133]
	v_add_f64 v[68:69], v[132:133], v[68:69]
	v_mul_f64 v[132:133], v[251:252], s[52:53]
	buffer_store_dword v132, off, s[64:67], 0 offset:1256 ; 4-byte Folded Spill
	s_nop 0
	buffer_store_dword v133, off, s[64:67], 0 offset:1260 ; 4-byte Folded Spill
	v_fma_f64 v[132:133], v[173:174], s[4:5], -v[132:133]
	;; [unrolled: 12-line block ×6, first 2 shown]
	v_add_f64 v[134:135], v[68:69], v[70:71]
	v_mul_f64 v[68:69], v[217:218], s[38:39]
	buffer_store_dword v132, off, s[64:67], 0 offset:52 ; 4-byte Folded Spill
	s_nop 0
	buffer_store_dword v133, off, s[64:67], 0 offset:56 ; 4-byte Folded Spill
	buffer_store_dword v134, off, s[64:67], 0 offset:60 ; 4-byte Folded Spill
	;; [unrolled: 1-line block ×4, first 2 shown]
	s_nop 0
	buffer_store_dword v69, off, s[64:67], 0 offset:1308 ; 4-byte Folded Spill
	v_mul_f64 v[70:71], v[225:226], s[48:49]
	buffer_store_dword v70, off, s[64:67], 0 offset:1312 ; 4-byte Folded Spill
	s_nop 0
	buffer_store_dword v71, off, s[64:67], 0 offset:1316 ; 4-byte Folded Spill
	v_mul_f64 v[132:133], v[219:220], s[48:49]
	v_fma_f64 v[68:69], v[148:149], s[18:19], v[68:69]
	v_add_f64 v[68:69], v[0:1], v[68:69]
	v_fma_f64 v[70:71], v[152:153], s[22:23], v[70:71]
	v_add_f64 v[68:69], v[70:71], v[68:69]
	v_mul_f64 v[70:71], v[193:194], s[38:39]
	buffer_store_dword v70, off, s[64:67], 0 offset:1368 ; 4-byte Folded Spill
	s_nop 0
	buffer_store_dword v71, off, s[64:67], 0 offset:1372 ; 4-byte Folded Spill
	buffer_store_dword v132, off, s[64:67], 0 offset:1376 ; 4-byte Folded Spill
	s_nop 0
	buffer_store_dword v133, off, s[64:67], 0 offset:1380 ; 4-byte Folded Spill
	v_fma_f64 v[70:71], v[150:151], s[18:19], -v[70:71]
	v_fma_f64 v[132:133], v[161:162], s[22:23], -v[132:133]
	v_add_f64 v[70:71], v[2:3], v[70:71]
	v_add_f64 v[70:71], v[132:133], v[70:71]
	v_mul_f64 v[132:133], v[249:250], s[54:55]
	buffer_store_dword v132, off, s[64:67], 0 offset:1328 ; 4-byte Folded Spill
	s_nop 0
	buffer_store_dword v133, off, s[64:67], 0 offset:1332 ; 4-byte Folded Spill
	v_fma_f64 v[132:133], v[163:164], s[20:21], v[132:133]
	v_add_f64 v[68:69], v[132:133], v[68:69]
	v_mul_f64 v[132:133], v[237:238], s[54:55]
	buffer_store_dword v132, off, s[64:67], 0 offset:1392 ; 4-byte Folded Spill
	s_nop 0
	buffer_store_dword v133, off, s[64:67], 0 offset:1396 ; 4-byte Folded Spill
	v_fma_f64 v[132:133], v[165:166], s[20:21], -v[132:133]
	v_add_f64 v[70:71], v[132:133], v[70:71]
	v_mul_f64 v[132:133], v[136:137], s[34:35]
	buffer_store_dword v132, off, s[64:67], 0 offset:1320 ; 4-byte Folded Spill
	s_nop 0
	buffer_store_dword v133, off, s[64:67], 0 offset:1324 ; 4-byte Folded Spill
	v_fma_f64 v[132:133], v[171:172], s[12:13], v[132:133]
	v_add_f64 v[68:69], v[132:133], v[68:69]
	v_mul_f64 v[132:133], v[251:252], s[34:35]
	buffer_store_dword v132, off, s[64:67], 0 offset:1384 ; 4-byte Folded Spill
	s_nop 0
	buffer_store_dword v133, off, s[64:67], 0 offset:1388 ; 4-byte Folded Spill
	v_fma_f64 v[132:133], v[173:174], s[12:13], -v[132:133]
	;; [unrolled: 12-line block ×6, first 2 shown]
	v_add_f64 v[134:135], v[68:69], v[70:71]
	v_mul_f64 v[68:69], v[217:218], s[40:41]
	buffer_store_dword v132, off, s[64:67], 0 offset:68 ; 4-byte Folded Spill
	s_nop 0
	buffer_store_dword v133, off, s[64:67], 0 offset:72 ; 4-byte Folded Spill
	buffer_store_dword v134, off, s[64:67], 0 offset:76 ; 4-byte Folded Spill
	;; [unrolled: 1-line block ×4, first 2 shown]
	s_nop 0
	buffer_store_dword v69, off, s[64:67], 0 offset:1436 ; 4-byte Folded Spill
	v_mul_f64 v[70:71], v[225:226], s[50:51]
	buffer_store_dword v70, off, s[64:67], 0 offset:1440 ; 4-byte Folded Spill
	s_nop 0
	buffer_store_dword v71, off, s[64:67], 0 offset:1444 ; 4-byte Folded Spill
	v_fma_f64 v[132:133], v[161:162], s[18:19], -v[223:224]
	v_fma_f64 v[68:69], v[148:149], s[24:25], v[68:69]
	v_add_f64 v[68:69], v[0:1], v[68:69]
	v_fma_f64 v[70:71], v[152:153], s[18:19], v[70:71]
	v_add_f64 v[68:69], v[70:71], v[68:69]
	v_fma_f64 v[70:71], v[150:151], s[24:25], -v[211:212]
	v_add_f64 v[70:71], v[2:3], v[70:71]
	v_add_f64 v[70:71], v[132:133], v[70:71]
	v_mul_f64 v[132:133], v[249:250], s[28:29]
	buffer_store_dword v132, off, s[64:67], 0 offset:1456 ; 4-byte Folded Spill
	s_nop 0
	buffer_store_dword v133, off, s[64:67], 0 offset:1460 ; 4-byte Folded Spill
	v_fma_f64 v[132:133], v[163:164], s[4:5], v[132:133]
	v_add_f64 v[68:69], v[132:133], v[68:69]
	v_fma_f64 v[132:133], v[165:166], s[4:5], -v[233:234]
	v_add_f64 v[70:71], v[132:133], v[70:71]
	v_mul_f64 v[132:133], v[136:137], s[42:43]
	buffer_store_dword v132, off, s[64:67], 0 offset:1448 ; 4-byte Folded Spill
	s_nop 0
	buffer_store_dword v133, off, s[64:67], 0 offset:1452 ; 4-byte Folded Spill
	v_fma_f64 v[132:133], v[171:172], s[22:23], v[132:133]
	v_add_f64 v[68:69], v[132:133], v[68:69]
	v_fma_f64 v[132:133], v[173:174], s[22:23], -v[231:232]
	;; [unrolled: 8-line block ×5, first 2 shown]
	v_add_f64 v[70:71], v[132:133], v[70:71]
	v_fma_f64 v[132:133], v[213:214], s[12:13], v[156:157]
	v_add_f64 v[132:133], v[132:133], v[68:69]
	v_fma_f64 v[68:69], v[215:216], s[12:13], -v[247:248]
	v_add_f64 v[134:135], v[68:69], v[70:71]
	v_mul_f64 v[68:69], v[217:218], s[42:43]
	buffer_store_dword v132, off, s[64:67], 0 offset:84 ; 4-byte Folded Spill
	s_nop 0
	buffer_store_dword v133, off, s[64:67], 0 offset:88 ; 4-byte Folded Spill
	buffer_store_dword v134, off, s[64:67], 0 offset:92 ; 4-byte Folded Spill
	buffer_store_dword v135, off, s[64:67], 0 offset:96 ; 4-byte Folded Spill
	v_fma_f64 v[70:71], v[148:149], s[22:23], v[68:69]
	v_add_f64 v[132:133], v[0:1], v[70:71]
	v_mul_f64 v[70:71], v[225:226], s[46:47]
	v_fma_f64 v[134:135], v[152:153], s[12:13], v[70:71]
	v_add_f64 v[134:135], v[134:135], v[132:133]
	v_fma_f64 v[132:133], v[150:151], s[22:23], -v[154:155]
	v_add_f64 v[132:133], v[2:3], v[132:133]
	v_add_f64 v[138:139], v[138:139], v[132:133]
	v_mul_f64 v[132:133], v[249:250], s[36:37]
	v_fma_f64 v[142:143], v[163:164], s[16:17], v[132:133]
	v_add_f64 v[134:135], v[142:143], v[134:135]
	v_fma_f64 v[142:143], v[165:166], s[16:17], -v[169:170]
	v_add_f64 v[138:139], v[142:143], v[138:139]
	v_fma_f64 v[142:143], v[171:172], s[24:25], v[253:254]
	v_add_f64 v[142:143], v[142:143], v[134:135]
	v_fma_f64 v[134:135], v[173:174], s[24:25], -v[167:168]
	v_add_f64 v[138:139], v[134:135], v[138:139]
	v_mul_f64 v[134:135], v[144:145], s[28:29]
	v_fma_f64 v[146:147], v[179:180], s[4:5], v[134:135]
	v_add_f64 v[142:143], v[146:147], v[142:143]
	v_fma_f64 v[146:147], v[181:182], s[4:5], -v[177:178]
	v_add_f64 v[146:147], v[146:147], v[138:139]
	v_mul_f64 v[138:139], v[185:186], s[44:45]
	v_fma_f64 v[183:184], v[189:190], s[26:27], v[138:139]
	v_add_f64 v[187:188], v[183:184], v[142:143]
	v_mul_f64 v[183:184], v[175:176], s[44:45]
	v_fma_f64 v[142:143], v[191:192], s[26:27], -v[183:184]
	v_add_f64 v[146:147], v[142:143], v[146:147]
	v_mul_f64 v[142:143], v[221:222], s[54:55]
	v_fma_f64 v[199:200], v[195:196], s[20:21], v[142:143]
	v_add_f64 v[199:200], v[199:200], v[187:188]
	v_mul_f64 v[187:188], v[203:204], s[54:55]
	;; [unrolled: 6-line block ×3, first 2 shown]
	v_fma_f64 v[209:210], v[215:216], s[18:19], -v[199:200]
	v_add_f64 v[229:230], v[209:210], v[201:202]
	buffer_store_dword v227, off, s[64:67], 0 offset:100 ; 4-byte Folded Spill
	s_nop 0
	buffer_store_dword v228, off, s[64:67], 0 offset:104 ; 4-byte Folded Spill
	buffer_store_dword v229, off, s[64:67], 0 offset:108 ; 4-byte Folded Spill
	;; [unrolled: 1-line block ×3, first 2 shown]
	s_waitcnt lgkmcnt(0)
	; wave barrier
	s_waitcnt vmcnt(63) expcnt(7) lgkmcnt(15)
	buffer_load_dword v201, off, s[64:67], 0 ; 4-byte Folded Reload
	buffer_load_dword v227, off, s[64:67], 0 offset:404 ; 4-byte Folded Reload
	buffer_load_dword v228, off, s[64:67], 0 offset:408 ; 4-byte Folded Reload
	;; [unrolled: 1-line block ×4, first 2 shown]
	s_waitcnt vmcnt(4)
	v_mul_lo_u16_e32 v160, 17, v201
	v_lshlrev_b32_e32 v160, 4, v160
	s_waitcnt vmcnt(0)
	ds_write_b128 v160, v[227:230]
	ds_write_b128 v160, v[80:83] offset:16
	ds_write_b128 v160, v[88:91] offset:32
	;; [unrolled: 1-line block ×15, first 2 shown]
	v_add_co_u32_e64 v128, s[0:1], 51, v201
	ds_write_b128 v160, v[72:75] offset:256
	v_mul_u32_u24_e32 v72, 17, v128
	buffer_store_dword v160, off, s[64:67], 0 offset:612 ; 4-byte Folded Spill
	buffer_store_dword v72, off, s[64:67], 0 offset:1132 ; 4-byte Folded Spill
	s_and_saveexec_b64 s[0:1], vcc
	s_cbranch_execz .LBB0_7
; %bb.6:
	v_add_f64 v[56:57], v[0:1], v[56:57]
	v_add_f64 v[58:59], v[2:3], v[58:59]
	v_mul_f64 v[72:73], v[217:218], s[44:45]
	v_mul_f64 v[74:75], v[225:226], s[52:53]
	;; [unrolled: 1-line block ×6, first 2 shown]
	v_add_f64 v[56:57], v[56:57], v[60:61]
	v_mul_f64 v[60:61], v[150:151], s[26:27]
	v_add_f64 v[58:59], v[58:59], v[62:63]
	v_mul_f64 v[62:63], v[161:162], s[4:5]
	v_fma_f64 v[76:77], v[152:153], s[4:5], v[74:75]
	v_mul_f64 v[114:115], v[152:153], s[24:25]
	v_mul_f64 v[124:125], v[163:164], s[26:27]
	;; [unrolled: 1-line block ×3, first 2 shown]
	v_add_f64 v[64:65], v[56:57], v[64:65]
	v_fma_f64 v[56:57], v[193:194], s[56:57], v[60:61]
	v_add_f64 v[66:67], v[58:59], v[66:67]
	v_fma_f64 v[58:59], v[219:220], s[28:29], v[62:63]
	v_fma_f64 v[60:61], v[193:194], s[44:45], v[60:61]
	;; [unrolled: 1-line block ×3, first 2 shown]
	v_mul_f64 v[122:123], v[165:166], s[24:25]
	v_add_f64 v[64:65], v[64:65], v[52:53]
	v_add_f64 v[56:57], v[2:3], v[56:57]
	v_add_f64 v[66:67], v[66:67], v[54:55]
	v_mul_f64 v[54:55], v[150:151], s[22:23]
	v_add_f64 v[60:61], v[2:3], v[60:61]
	v_mul_f64 v[52:53], v[165:166], s[16:17]
	v_add_f64 v[64:65], v[64:65], v[48:49]
	v_add_f64 v[56:57], v[58:59], v[56:57]
	v_fma_f64 v[58:59], v[148:149], s[26:27], v[72:73]
	v_add_f64 v[54:55], v[154:155], v[54:55]
	v_add_f64 v[60:61], v[62:63], v[60:61]
	;; [unrolled: 1-line block ×4, first 2 shown]
	v_mul_f64 v[66:67], v[150:151], s[24:25]
	v_mul_f64 v[48:49], v[165:166], s[4:5]
	v_add_f64 v[12:13], v[64:65], v[12:13]
	v_add_f64 v[58:59], v[0:1], v[58:59]
	;; [unrolled: 1-line block ×8, first 2 shown]
	v_mul_f64 v[76:77], v[165:166], s[22:23]
	v_add_f64 v[6:7], v[14:15], v[6:7]
	v_add_f64 v[66:67], v[2:3], v[66:67]
	;; [unrolled: 1-line block ×3, first 2 shown]
	v_fma_f64 v[78:79], v[237:238], s[48:49], v[76:77]
	v_fma_f64 v[76:77], v[237:238], s[42:43], v[76:77]
	v_add_f64 v[6:7], v[6:7], v[10:11]
	v_add_f64 v[4:5], v[4:5], v[16:17]
	;; [unrolled: 1-line block ×3, first 2 shown]
	v_mul_f64 v[78:79], v[249:250], s[42:43]
	v_add_f64 v[60:61], v[76:77], v[60:61]
	v_add_f64 v[6:7], v[6:7], v[18:19]
	;; [unrolled: 1-line block ×3, first 2 shown]
	v_fma_f64 v[80:81], v[163:164], s[22:23], v[78:79]
	v_add_f64 v[6:7], v[6:7], v[22:23]
	v_add_f64 v[4:5], v[4:5], v[24:25]
	;; [unrolled: 1-line block ×3, first 2 shown]
	v_mul_f64 v[80:81], v[173:174], s[20:21]
	v_add_f64 v[6:7], v[6:7], v[26:27]
	v_add_f64 v[4:5], v[4:5], v[28:29]
	v_fma_f64 v[82:83], v[251:252], s[30:31], v[80:81]
	v_fma_f64 v[62:63], v[251:252], s[54:55], v[80:81]
	v_add_f64 v[6:7], v[6:7], v[30:31]
	v_add_f64 v[4:5], v[4:5], v[32:33]
	;; [unrolled: 1-line block ×3, first 2 shown]
	v_mul_f64 v[82:83], v[136:137], s[54:55]
	v_add_f64 v[60:61], v[62:63], v[60:61]
	v_add_f64 v[6:7], v[6:7], v[34:35]
	;; [unrolled: 1-line block ×3, first 2 shown]
	v_fma_f64 v[84:85], v[171:172], s[20:21], v[82:83]
	v_add_f64 v[6:7], v[6:7], v[38:39]
	v_add_f64 v[4:5], v[4:5], v[40:41]
	;; [unrolled: 1-line block ×3, first 2 shown]
	v_mul_f64 v[84:85], v[181:182], s[24:25]
	v_add_f64 v[26:27], v[6:7], v[42:43]
	v_fma_f64 v[86:87], v[140:141], s[58:59], v[84:85]
	v_fma_f64 v[76:77], v[140:141], s[40:41], v[84:85]
	v_add_f64 v[56:57], v[86:87], v[56:57]
	v_mul_f64 v[86:87], v[144:145], s[40:41]
	v_add_f64 v[60:61], v[76:77], v[60:61]
	v_fma_f64 v[76:77], v[243:244], s[60:61], v[100:101]
	v_fma_f64 v[88:89], v[179:180], s[24:25], v[86:87]
	v_add_f64 v[58:59], v[88:89], v[58:59]
	v_mul_f64 v[88:89], v[191:192], s[12:13]
	v_fma_f64 v[62:63], v[175:176], s[46:47], v[88:89]
	v_fma_f64 v[90:91], v[175:176], s[34:35], v[88:89]
	v_add_f64 v[60:61], v[62:63], v[60:61]
	v_fma_f64 v[62:63], v[148:149], s[26:27], -v[72:73]
	v_add_f64 v[56:57], v[90:91], v[56:57]
	v_mul_f64 v[90:91], v[185:186], s[46:47]
	v_fma_f64 v[72:73], v[152:153], s[4:5], -v[74:75]
	v_fma_f64 v[74:75], v[213:214], s[16:17], -v[98:99]
	v_add_f64 v[62:63], v[0:1], v[62:63]
	v_fma_f64 v[92:93], v[189:190], s[12:13], v[90:91]
	v_add_f64 v[62:63], v[72:73], v[62:63]
	v_fma_f64 v[72:73], v[163:164], s[22:23], -v[78:79]
	v_add_f64 v[58:59], v[92:93], v[58:59]
	v_mul_f64 v[92:93], v[197:198], s[18:19]
	v_add_f64 v[62:63], v[72:73], v[62:63]
	v_fma_f64 v[72:73], v[171:172], s[20:21], -v[82:83]
	v_fma_f64 v[94:95], v[203:204], s[50:51], v[92:93]
	v_fma_f64 v[80:81], v[203:204], s[38:39], v[92:93]
	v_add_f64 v[62:63], v[72:73], v[62:63]
	v_fma_f64 v[72:73], v[179:180], s[24:25], -v[86:87]
	v_add_f64 v[56:57], v[94:95], v[56:57]
	v_mul_f64 v[94:95], v[221:222], s[38:39]
	v_add_f64 v[60:61], v[80:81], v[60:61]
	v_add_f64 v[62:63], v[72:73], v[62:63]
	v_fma_f64 v[72:73], v[189:190], s[12:13], -v[90:91]
	v_fma_f64 v[96:97], v[195:196], s[18:19], v[94:95]
	v_add_f64 v[62:63], v[72:73], v[62:63]
	v_fma_f64 v[72:73], v[195:196], s[18:19], -v[94:95]
	v_add_f64 v[96:97], v[96:97], v[58:59]
	v_fma_f64 v[58:59], v[243:244], s[36:37], v[100:101]
	v_add_f64 v[72:73], v[72:73], v[62:63]
	v_add_f64 v[62:63], v[76:77], v[60:61]
	;; [unrolled: 1-line block ×3, first 2 shown]
	v_fma_f64 v[56:57], v[213:214], s[16:17], v[98:99]
	v_add_f64 v[60:61], v[74:75], v[72:73]
	v_mul_f64 v[72:73], v[161:162], s[12:13]
	v_mul_f64 v[74:75], v[148:149], s[22:23]
	v_add_f64 v[56:57], v[56:57], v[96:97]
	v_add_f64 v[72:73], v[158:159], v[72:73]
	v_add_f64 v[68:69], v[74:75], -v[68:69]
	v_mul_f64 v[74:75], v[152:153], s[12:13]
	v_mul_f64 v[159:160], v[215:216], s[22:23]
	v_add_f64 v[54:55], v[72:73], v[54:55]
	v_mul_f64 v[72:73], v[173:174], s[24:25]
	v_add_f64 v[70:71], v[74:75], -v[70:71]
	v_add_f64 v[68:69], v[0:1], v[68:69]
	v_add_f64 v[52:53], v[52:53], v[54:55]
	v_add_f64 v[72:73], v[167:168], v[72:73]
	v_mul_f64 v[54:55], v[181:182], s[4:5]
	v_add_f64 v[68:69], v[70:71], v[68:69]
	v_mul_f64 v[70:71], v[171:172], s[24:25]
	v_add_f64 v[52:53], v[72:73], v[52:53]
	v_add_f64 v[54:55], v[177:178], v[54:55]
	v_mul_f64 v[72:73], v[191:192], s[26:27]
	v_add_f64 v[70:71], v[70:71], -v[253:254]
	v_add_f64 v[52:53], v[54:55], v[52:53]
	v_add_f64 v[72:73], v[183:184], v[72:73]
	v_mul_f64 v[54:55], v[197:198], s[20:21]
	v_add_f64 v[52:53], v[72:73], v[52:53]
	v_add_f64 v[54:55], v[187:188], v[54:55]
	v_mul_f64 v[72:73], v[215:216], s[18:19]
	v_add_f64 v[52:53], v[54:55], v[52:53]
	v_mul_f64 v[54:55], v[163:164], s[16:17]
	v_add_f64 v[72:73], v[199:200], v[72:73]
	v_add_f64 v[54:55], v[54:55], -v[132:133]
	v_mul_f64 v[131:132], v[171:172], s[26:27]
	v_add_f64 v[54:55], v[54:55], v[68:69]
	v_mul_f64 v[68:69], v[179:180], s[4:5]
	v_add_f64 v[54:55], v[70:71], v[54:55]
	v_add_f64 v[68:69], v[68:69], -v[134:135]
	v_mul_f64 v[70:71], v[189:190], s[26:27]
	v_mul_f64 v[133:134], v[173:174], s[26:27]
	v_add_f64 v[54:55], v[68:69], v[54:55]
	v_add_f64 v[70:71], v[70:71], -v[138:139]
	v_mul_f64 v[68:69], v[195:196], s[20:21]
	;; [unrolled: 4-line block ×3, first 2 shown]
	v_mul_f64 v[141:142], v[181:182], s[22:23]
	v_add_f64 v[68:69], v[68:69], v[54:55]
	v_add_f64 v[70:71], v[70:71], -v[146:147]
	v_add_f64 v[54:55], v[72:73], v[52:53]
	v_mul_f64 v[145:146], v[191:192], s[18:19]
	v_add_f64 v[52:53], v[70:71], v[68:69]
	buffer_load_dword v70, off, s[64:67], 0 offset:1456 ; 4-byte Folded Reload
	buffer_load_dword v71, off, s[64:67], 0 offset:1460 ; 4-byte Folded Reload
	;; [unrolled: 1-line block ×4, first 2 shown]
	v_mul_f64 v[68:69], v[161:162], s[18:19]
	buffer_load_dword v74, off, s[64:67], 0 offset:1440 ; 4-byte Folded Reload
	buffer_load_dword v75, off, s[64:67], 0 offset:1444 ; 4-byte Folded Reload
	v_add_f64 v[68:69], v[223:224], v[68:69]
	v_add_f64 v[66:67], v[68:69], v[66:67]
	v_mul_f64 v[68:69], v[173:174], s[22:23]
	v_add_f64 v[48:49], v[48:49], v[66:67]
	v_add_f64 v[68:69], v[231:232], v[68:69]
	v_mul_f64 v[66:67], v[181:182], s[16:17]
	;; [unrolled: 3-line block ×5, first 2 shown]
	v_add_f64 v[48:49], v[66:67], v[48:49]
	v_mul_f64 v[66:67], v[163:164], s[4:5]
	v_add_f64 v[68:69], v[247:248], v[68:69]
	v_add_f64 v[48:49], v[68:69], v[48:49]
	s_waitcnt vmcnt(4)
	v_add_f64 v[66:67], v[66:67], -v[70:71]
	v_mul_f64 v[70:71], v[148:149], s[24:25]
	s_waitcnt vmcnt(2)
	v_add_f64 v[70:71], v[70:71], -v[72:73]
	v_mul_f64 v[72:73], v[152:153], s[18:19]
	v_add_f64 v[70:71], v[0:1], v[70:71]
	s_waitcnt vmcnt(0)
	v_add_f64 v[72:73], v[72:73], -v[74:75]
	buffer_load_dword v74, off, s[64:67], 0 offset:1448 ; 4-byte Folded Reload
	buffer_load_dword v75, off, s[64:67], 0 offset:1452 ; 4-byte Folded Reload
	v_add_f64 v[70:71], v[72:73], v[70:71]
	v_mul_f64 v[72:73], v[171:172], s[22:23]
	v_add_f64 v[66:67], v[66:67], v[70:71]
	v_mul_f64 v[70:71], v[179:180], s[16:17]
	s_waitcnt vmcnt(0)
	v_add_f64 v[72:73], v[72:73], -v[74:75]
	buffer_load_dword v74, off, s[64:67], 0 offset:1464 ; 4-byte Folded Reload
	buffer_load_dword v75, off, s[64:67], 0 offset:1468 ; 4-byte Folded Reload
	v_add_f64 v[66:67], v[72:73], v[66:67]
	v_mul_f64 v[72:73], v[189:190], s[20:21]
	s_waitcnt vmcnt(0)
	v_add_f64 v[70:71], v[70:71], -v[74:75]
	buffer_load_dword v74, off, s[64:67], 0 offset:1472 ; 4-byte Folded Reload
	buffer_load_dword v75, off, s[64:67], 0 offset:1476 ; 4-byte Folded Reload
	;; [unrolled: 6-line block ×3, first 2 shown]
	v_add_f64 v[66:67], v[72:73], v[66:67]
	v_mul_f64 v[72:73], v[213:214], s[12:13]
	v_add_f64 v[72:73], v[72:73], -v[156:157]
	s_waitcnt vmcnt(0)
	v_add_f64 v[70:71], v[70:71], -v[74:75]
	v_add_f64 v[74:75], v[70:71], v[66:67]
	buffer_load_dword v70, off, s[64:67], 0 offset:1392 ; 4-byte Folded Reload
	buffer_load_dword v71, off, s[64:67], 0 offset:1396 ; 4-byte Folded Reload
	;; [unrolled: 1-line block ×6, first 2 shown]
	v_mul_f64 v[66:67], v[165:166], s[20:21]
	s_waitcnt vmcnt(4)
	v_add_f64 v[66:67], v[70:71], v[66:67]
	v_mul_f64 v[70:71], v[150:151], s[18:19]
	s_waitcnt vmcnt(2)
	v_add_f64 v[70:71], v[76:77], v[70:71]
	v_mul_f64 v[76:77], v[161:162], s[22:23]
	v_add_f64 v[70:71], v[2:3], v[70:71]
	s_waitcnt vmcnt(0)
	v_add_f64 v[76:77], v[78:79], v[76:77]
	buffer_load_dword v78, off, s[64:67], 0 offset:1384 ; 4-byte Folded Reload
	buffer_load_dword v79, off, s[64:67], 0 offset:1388 ; 4-byte Folded Reload
	v_add_f64 v[70:71], v[76:77], v[70:71]
	v_mul_f64 v[76:77], v[173:174], s[12:13]
	v_add_f64 v[66:67], v[66:67], v[70:71]
	v_mul_f64 v[70:71], v[181:182], s[26:27]
	s_waitcnt vmcnt(0)
	v_add_f64 v[76:77], v[78:79], v[76:77]
	buffer_load_dword v78, off, s[64:67], 0 offset:1400 ; 4-byte Folded Reload
	buffer_load_dword v79, off, s[64:67], 0 offset:1404 ; 4-byte Folded Reload
	v_add_f64 v[66:67], v[76:77], v[66:67]
	v_mul_f64 v[76:77], v[191:192], s[16:17]
	s_waitcnt vmcnt(0)
	v_add_f64 v[70:71], v[78:79], v[70:71]
	buffer_load_dword v78, off, s[64:67], 0 offset:1408 ; 4-byte Folded Reload
	buffer_load_dword v79, off, s[64:67], 0 offset:1412 ; 4-byte Folded Reload
	;; [unrolled: 6-line block ×5, first 2 shown]
	buffer_load_dword v80, off, s[64:67], 0 offset:1304 ; 4-byte Folded Reload
	buffer_load_dword v81, off, s[64:67], 0 offset:1308 ; 4-byte Folded Reload
	;; [unrolled: 1-line block ×4, first 2 shown]
	v_add_f64 v[66:67], v[76:77], v[66:67]
	s_waitcnt vmcnt(4)
	v_add_f64 v[70:71], v[70:71], -v[78:79]
	v_mul_f64 v[78:79], v[148:149], s[18:19]
	s_waitcnt vmcnt(2)
	v_add_f64 v[78:79], v[78:79], -v[80:81]
	v_mul_f64 v[80:81], v[152:153], s[22:23]
	v_add_f64 v[78:79], v[0:1], v[78:79]
	s_waitcnt vmcnt(0)
	v_add_f64 v[80:81], v[80:81], -v[82:83]
	buffer_load_dword v82, off, s[64:67], 0 offset:1320 ; 4-byte Folded Reload
	buffer_load_dword v83, off, s[64:67], 0 offset:1324 ; 4-byte Folded Reload
	v_add_f64 v[78:79], v[80:81], v[78:79]
	v_mul_f64 v[80:81], v[171:172], s[12:13]
	v_add_f64 v[70:71], v[70:71], v[78:79]
	v_mul_f64 v[78:79], v[179:180], s[26:27]
	s_waitcnt vmcnt(0)
	v_add_f64 v[80:81], v[80:81], -v[82:83]
	buffer_load_dword v82, off, s[64:67], 0 offset:1336 ; 4-byte Folded Reload
	buffer_load_dword v83, off, s[64:67], 0 offset:1340 ; 4-byte Folded Reload
	v_add_f64 v[70:71], v[80:81], v[70:71]
	v_mul_f64 v[80:81], v[189:190], s[16:17]
	s_waitcnt vmcnt(0)
	v_add_f64 v[78:79], v[78:79], -v[82:83]
	buffer_load_dword v82, off, s[64:67], 0 offset:1344 ; 4-byte Folded Reload
	buffer_load_dword v83, off, s[64:67], 0 offset:1348 ; 4-byte Folded Reload
	;; [unrolled: 6-line block ×5, first 2 shown]
	buffer_load_dword v84, off, s[64:67], 0 offset:1232 ; 4-byte Folded Reload
	buffer_load_dword v85, off, s[64:67], 0 offset:1236 ; 4-byte Folded Reload
	;; [unrolled: 1-line block ×4, first 2 shown]
	s_waitcnt vmcnt(4)
	v_add_f64 v[70:71], v[82:83], v[70:71]
	v_mul_f64 v[82:83], v[150:151], s[16:17]
	s_waitcnt vmcnt(2)
	v_add_f64 v[82:83], v[84:85], v[82:83]
	v_mul_f64 v[84:85], v[161:162], s[26:27]
	v_add_f64 v[82:83], v[2:3], v[82:83]
	s_waitcnt vmcnt(0)
	v_add_f64 v[84:85], v[86:87], v[84:85]
	buffer_load_dword v86, off, s[64:67], 0 offset:1256 ; 4-byte Folded Reload
	buffer_load_dword v87, off, s[64:67], 0 offset:1260 ; 4-byte Folded Reload
	v_add_f64 v[82:83], v[84:85], v[82:83]
	v_mul_f64 v[84:85], v[173:174], s[4:5]
	v_add_f64 v[70:71], v[70:71], v[82:83]
	v_mul_f64 v[82:83], v[181:182], s[12:13]
	s_waitcnt vmcnt(0)
	v_add_f64 v[84:85], v[86:87], v[84:85]
	buffer_load_dword v86, off, s[64:67], 0 offset:1272 ; 4-byte Folded Reload
	buffer_load_dword v87, off, s[64:67], 0 offset:1276 ; 4-byte Folded Reload
	v_add_f64 v[70:71], v[84:85], v[70:71]
	v_mul_f64 v[84:85], v[191:192], s[22:23]
	s_waitcnt vmcnt(0)
	v_add_f64 v[82:83], v[86:87], v[82:83]
	buffer_load_dword v86, off, s[64:67], 0 offset:1280 ; 4-byte Folded Reload
	buffer_load_dword v87, off, s[64:67], 0 offset:1284 ; 4-byte Folded Reload
	v_add_f64 v[70:71], v[82:83], v[70:71]
	v_mul_f64 v[82:83], v[197:198], s[24:25]
	s_waitcnt vmcnt(0)
	v_add_f64 v[84:85], v[86:87], v[84:85]
	buffer_load_dword v86, off, s[64:67], 0 offset:1288 ; 4-byte Folded Reload
	buffer_load_dword v87, off, s[64:67], 0 offset:1292 ; 4-byte Folded Reload
	v_add_f64 v[70:71], v[84:85], v[70:71]
	v_mul_f64 v[84:85], v[215:216], s[20:21]
	s_waitcnt vmcnt(0)
	v_add_f64 v[82:83], v[86:87], v[82:83]
	buffer_load_dword v86, off, s[64:67], 0 offset:1296 ; 4-byte Folded Reload
	buffer_load_dword v87, off, s[64:67], 0 offset:1300 ; 4-byte Folded Reload
	v_add_f64 v[70:71], v[82:83], v[70:71]
	v_mul_f64 v[82:83], v[189:190], s[22:23]
	s_waitcnt vmcnt(0)
	v_add_f64 v[84:85], v[86:87], v[84:85]
	buffer_load_dword v86, off, s[64:67], 0 offset:1248 ; 4-byte Folded Reload
	buffer_load_dword v87, off, s[64:67], 0 offset:1252 ; 4-byte Folded Reload
	buffer_load_dword v88, off, s[64:67], 0 offset:1216 ; 4-byte Folded Reload
	buffer_load_dword v89, off, s[64:67], 0 offset:1220 ; 4-byte Folded Reload
	;; [unrolled: 1-line block ×6, first 2 shown]
	v_add_f64 v[70:71], v[84:85], v[70:71]
	s_waitcnt vmcnt(6)
	v_add_f64 v[82:83], v[82:83], -v[86:87]
	v_mul_f64 v[86:87], v[163:164], s[18:19]
	s_waitcnt vmcnt(4)
	v_add_f64 v[86:87], v[86:87], -v[88:89]
	v_mul_f64 v[88:89], v[148:149], s[16:17]
	;; [unrolled: 3-line block ×3, first 2 shown]
	v_add_f64 v[88:89], v[0:1], v[88:89]
	s_waitcnt vmcnt(0)
	v_add_f64 v[90:91], v[90:91], -v[92:93]
	buffer_load_dword v92, off, s[64:67], 0 offset:1200 ; 4-byte Folded Reload
	buffer_load_dword v93, off, s[64:67], 0 offset:1204 ; 4-byte Folded Reload
	v_add_f64 v[88:89], v[90:91], v[88:89]
	v_mul_f64 v[90:91], v[171:172], s[4:5]
	v_add_f64 v[86:87], v[86:87], v[88:89]
	v_mul_f64 v[88:89], v[179:180], s[12:13]
	s_waitcnt vmcnt(0)
	v_add_f64 v[90:91], v[90:91], -v[92:93]
	buffer_load_dword v92, off, s[64:67], 0 offset:1224 ; 4-byte Folded Reload
	buffer_load_dword v93, off, s[64:67], 0 offset:1228 ; 4-byte Folded Reload
	v_add_f64 v[86:87], v[90:91], v[86:87]
	v_mul_f64 v[90:91], v[165:166], s[26:27]
	s_waitcnt vmcnt(0)
	v_add_f64 v[88:89], v[88:89], -v[92:93]
	buffer_load_dword v92, off, s[64:67], 0 offset:1136 ; 4-byte Folded Reload
	buffer_load_dword v93, off, s[64:67], 0 offset:1140 ; 4-byte Folded Reload
	;; [unrolled: 1-line block ×6, first 2 shown]
	v_add_f64 v[86:87], v[88:89], v[86:87]
	v_mul_f64 v[88:89], v[148:149], s[4:5]
	v_add_f64 v[82:83], v[82:83], v[86:87]
	v_mul_f64 v[86:87], v[148:149], s[20:21]
	v_mul_f64 v[147:148], v[189:190], s[4:5]
	s_waitcnt vmcnt(4)
	v_add_f64 v[90:91], v[92:93], v[90:91]
	v_mul_f64 v[92:93], v[150:151], s[12:13]
	s_waitcnt vmcnt(2)
	v_add_f64 v[92:93], v[94:95], v[92:93]
	v_mul_f64 v[94:95], v[161:162], s[24:25]
	v_add_f64 v[92:93], v[2:3], v[92:93]
	s_waitcnt vmcnt(0)
	v_add_f64 v[94:95], v[96:97], v[94:95]
	buffer_load_dword v96, off, s[64:67], 0 offset:1116 ; 4-byte Folded Reload
	buffer_load_dword v97, off, s[64:67], 0 offset:1120 ; 4-byte Folded Reload
	;; [unrolled: 1-line block ×18, first 2 shown]
	v_add_f64 v[92:93], v[94:95], v[92:93]
	v_mul_f64 v[94:95], v[173:174], s[18:19]
	buffer_load_dword v126, off, s[64:67], 0 offset:972 ; 4-byte Folded Reload
	buffer_load_dword v127, off, s[64:67], 0 offset:976 ; 4-byte Folded Reload
	buffer_load_dword v129, off, s[64:67], 0 offset:892 ; 4-byte Folded Reload
	buffer_load_dword v130, off, s[64:67], 0 offset:896 ; 4-byte Folded Reload
	buffer_load_dword v135, off, s[64:67], 0 offset:956 ; 4-byte Folded Reload
	buffer_load_dword v136, off, s[64:67], 0 offset:960 ; 4-byte Folded Reload
	buffer_load_dword v137, off, s[64:67], 0 offset:924 ; 4-byte Folded Reload
	buffer_load_dword v138, off, s[64:67], 0 offset:928 ; 4-byte Folded Reload
	buffer_load_dword v143, off, s[64:67], 0 offset:908 ; 4-byte Folded Reload
	buffer_load_dword v144, off, s[64:67], 0 offset:912 ; 4-byte Folded Reload
	v_add_f64 v[90:91], v[90:91], v[92:93]
	v_mul_f64 v[92:93], v[181:182], s[20:21]
	s_waitcnt vmcnt(26)
	v_add_f64 v[94:95], v[96:97], v[94:95]
	v_mul_f64 v[96:97], v[195:196], s[24:25]
	s_waitcnt vmcnt(22)
	v_add_f64 v[92:93], v[100:101], v[92:93]
	v_mul_f64 v[100:101], v[150:151], s[4:5]
	buffer_load_dword v149, off, s[64:67], 0 offset:844 ; 4-byte Folded Reload
	buffer_load_dword v150, off, s[64:67], 0 offset:848 ; 4-byte Folded Reload
	;; [unrolled: 1-line block ×8, first 2 shown]
	v_add_f64 v[90:91], v[94:95], v[90:91]
	v_add_f64 v[96:97], v[96:97], -v[98:99]
	v_mul_f64 v[98:99], v[191:192], s[4:5]
	buffer_load_dword v64, off, s[64:67], 0 offset:860 ; 4-byte Folded Reload
	buffer_load_dword v65, off, s[64:67], 0 offset:864 ; 4-byte Folded Reload
	s_waitcnt vmcnt(20)
	v_add_f64 v[106:107], v[106:107], -v[120:121]
	s_waitcnt vmcnt(18)
	v_add_f64 v[114:115], v[114:115], -v[126:127]
	v_mul_f64 v[94:95], v[213:214], s[20:21]
	s_waitcnt vmcnt(14)
	v_add_f64 v[124:125], v[124:125], -v[135:136]
	v_add_f64 v[90:91], v[92:93], v[90:91]
	v_add_f64 v[82:83], v[96:97], v[82:83]
	;; [unrolled: 1-line block ×3, first 2 shown]
	v_mul_f64 v[104:105], v[197:198], s[16:17]
	v_add_f64 v[106:107], v[0:1], v[106:107]
	v_mul_f64 v[96:97], v[171:172], s[18:19]
	v_add_f64 v[94:95], v[94:95], -v[108:109]
	v_mul_f64 v[108:109], v[179:180], s[20:21]
	v_add_f64 v[102:103], v[129:130], v[102:103]
	v_mul_f64 v[92:93], v[152:153], s[20:21]
	v_add_f64 v[90:91], v[98:99], v[90:91]
	v_add_f64 v[104:105], v[110:111], v[104:105]
	;; [unrolled: 1-line block ×3, first 2 shown]
	v_add_f64 v[96:97], v[96:97], -v[118:119]
	v_mul_f64 v[110:111], v[161:162], s[20:21]
	v_add_f64 v[108:109], v[108:109], -v[116:117]
	v_mul_f64 v[161:162], v[213:214], s[22:23]
	v_add_f64 v[102:103], v[2:3], v[102:103]
	v_mul_f64 v[98:99], v[152:153], s[16:17]
	v_add_f64 v[84:85], v[104:105], v[90:91]
	buffer_load_dword v90, off, s[64:67], 0 offset:764 ; 4-byte Folded Reload
	buffer_load_dword v91, off, s[64:67], 0 offset:768 ; 4-byte Folded Reload
	;; [unrolled: 1-line block ×4, first 2 shown]
	v_add_f64 v[106:107], v[124:125], v[106:107]
	v_mul_f64 v[118:119], v[165:166], s[12:13]
	v_mul_f64 v[116:117], v[163:164], s[12:13]
	;; [unrolled: 1-line block ×6, first 2 shown]
	s_waitcnt vmcnt(16)
	v_add_f64 v[112:113], v[137:138], v[112:113]
	v_add_f64 v[96:97], v[96:97], v[106:107]
	v_mul_f64 v[137:138], v[181:182], s[18:19]
	s_waitcnt vmcnt(14)
	v_add_f64 v[122:123], v[143:144], v[122:123]
	v_mul_f64 v[143:144], v[191:192], s[24:25]
	v_mul_f64 v[114:115], v[189:190], s[24:25]
	;; [unrolled: 1-line block ×4, first 2 shown]
	v_add_f64 v[102:103], v[112:113], v[102:103]
	v_add_f64 v[76:77], v[108:109], v[96:97]
	v_mul_f64 v[112:113], v[189:190], s[18:19]
	v_mul_f64 v[153:154], v[195:196], s[16:17]
	;; [unrolled: 1-line block ×3, first 2 shown]
	v_add_f64 v[102:103], v[122:123], v[102:103]
	v_mul_f64 v[122:123], v[195:196], s[12:13]
	s_waitcnt vmcnt(12)
	v_add_f64 v[133:134], v[149:150], v[133:134]
	v_mul_f64 v[149:150], v[197:198], s[22:23]
	s_waitcnt vmcnt(10)
	v_add_f64 v[141:142], v[155:156], v[141:142]
	s_waitcnt vmcnt(8)
	v_add_f64 v[145:146], v[157:158], v[145:146]
	v_mul_f64 v[155:156], v[215:216], s[26:27]
	v_mul_f64 v[157:158], v[215:216], s[4:5]
	s_waitcnt vmcnt(6)
	v_add_f64 v[50:51], v[50:51], v[159:160]
	s_waitcnt vmcnt(4)
	v_add_f64 v[64:65], v[147:148], -v[64:65]
	v_add_f64 v[102:103], v[133:134], v[102:103]
	v_mul_f64 v[133:134], v[213:214], s[4:5]
	v_add_f64 v[14:15], v[64:65], v[76:77]
	v_add_f64 v[68:69], v[141:142], v[102:103]
	;; [unrolled: 1-line block ×3, first 2 shown]
	s_waitcnt vmcnt(2)
	v_add_f64 v[90:91], v[90:91], v[151:152]
	s_waitcnt vmcnt(0)
	v_add_f64 v[96:97], v[161:162], -v[12:13]
	buffer_load_dword v12, off, s[64:67], 0 offset:828 ; 4-byte Folded Reload
	buffer_load_dword v13, off, s[64:67], 0 offset:832 ; 4-byte Folded Reload
	;; [unrolled: 1-line block ×10, first 2 shown]
	v_add_f64 v[68:69], v[90:91], v[68:69]
	s_waitcnt vmcnt(8)
	v_add_f64 v[12:13], v[153:154], -v[12:13]
	s_waitcnt vmcnt(6)
	v_add_f64 v[64:65], v[64:65], v[157:158]
	s_waitcnt vmcnt(4)
	v_add_f64 v[76:77], v[76:77], v[100:101]
	s_waitcnt vmcnt(2)
	v_add_f64 v[8:9], v[88:89], -v[8:9]
	s_waitcnt vmcnt(0)
	v_add_f64 v[10:11], v[86:87], -v[10:11]
	buffer_load_dword v86, off, s[64:67], 0 offset:700 ; 4-byte Folded Reload
	buffer_load_dword v87, off, s[64:67], 0 offset:704 ; 4-byte Folded Reload
	;; [unrolled: 1-line block ×4, first 2 shown]
	v_add_f64 v[6:7], v[64:65], v[68:69]
	v_add_f64 v[2:3], v[2:3], v[76:77]
	buffer_load_dword v76, off, s[64:67], 0 offset:452 ; 4-byte Folded Reload
	buffer_load_dword v77, off, s[64:67], 0 offset:456 ; 4-byte Folded Reload
	v_add_f64 v[8:9], v[0:1], v[8:9]
	v_add_f64 v[0:1], v[0:1], v[10:11]
	buffer_load_dword v10, off, s[64:67], 0 offset:748 ; 4-byte Folded Reload
	buffer_load_dword v11, off, s[64:67], 0 offset:752 ; 4-byte Folded Reload
	;; [unrolled: 1-line block ×10, first 2 shown]
	v_add_f64 v[68:69], v[94:95], v[82:83]
	v_add_f64 v[64:65], v[80:81], v[78:79]
	s_waitcnt vmcnt(14)
	v_add_f64 v[86:87], v[98:99], -v[86:87]
	s_waitcnt vmcnt(12)
	v_add_f64 v[88:89], v[88:89], v[110:111]
	s_waitcnt vmcnt(10)
	v_add_f64 v[76:77], v[92:93], -v[76:77]
	v_add_f64 v[0:1], v[86:87], v[0:1]
	v_add_f64 v[2:3], v[88:89], v[2:3]
	s_waitcnt vmcnt(6)
	v_add_f64 v[16:17], v[16:17], v[118:119]
	v_add_f64 v[10:11], v[120:121], -v[10:11]
	s_waitcnt vmcnt(4)
	v_add_f64 v[18:19], v[116:117], -v[18:19]
	s_waitcnt vmcnt(0)
	v_add_f64 v[22:23], v[22:23], v[129:130]
	v_add_f64 v[8:9], v[76:77], v[8:9]
	v_add_f64 v[20:21], v[131:132], -v[20:21]
	v_add_f64 v[2:3], v[16:17], v[2:3]
	buffer_load_dword v16, off, s[64:67], 0 offset:516 ; 4-byte Folded Reload
	buffer_load_dword v17, off, s[64:67], 0 offset:520 ; 4-byte Folded Reload
	v_add_f64 v[0:1], v[10:11], v[0:1]
	buffer_load_dword v10, off, s[64:67], 0 offset:732 ; 4-byte Folded Reload
	buffer_load_dword v11, off, s[64:67], 0 offset:736 ; 4-byte Folded Reload
	;; [unrolled: 3-line block ×4, first 2 shown]
	v_add_f64 v[0:1], v[20:21], v[0:1]
	s_waitcnt vmcnt(6)
	v_add_f64 v[16:17], v[126:127], -v[16:17]
	s_waitcnt vmcnt(4)
	v_add_f64 v[10:11], v[139:140], -v[10:11]
	s_waitcnt vmcnt(2)
	v_add_f64 v[18:19], v[18:19], v[137:138]
	s_waitcnt vmcnt(0)
	v_add_f64 v[22:23], v[135:136], -v[22:23]
	v_add_f64 v[8:9], v[16:17], v[8:9]
	buffer_load_dword v16, off, s[64:67], 0 offset:724 ; 4-byte Folded Reload
	buffer_load_dword v17, off, s[64:67], 0 offset:728 ; 4-byte Folded Reload
	;; [unrolled: 1-line block ×4, first 2 shown]
	v_add_f64 v[2:3], v[18:19], v[2:3]
	buffer_load_dword v18, off, s[64:67], 0 offset:580 ; 4-byte Folded Reload
	buffer_load_dword v19, off, s[64:67], 0 offset:584 ; 4-byte Folded Reload
	v_add_f64 v[0:1], v[10:11], v[0:1]
	buffer_load_dword v10, off, s[64:67], 0 offset:716 ; 4-byte Folded Reload
	buffer_load_dword v11, off, s[64:67], 0 offset:720 ; 4-byte Folded Reload
	;; [unrolled: 3-line block ×3, first 2 shown]
	s_waitcnt vmcnt(8)
	v_add_f64 v[16:17], v[112:113], -v[16:17]
	s_waitcnt vmcnt(6)
	v_add_f64 v[20:21], v[20:21], v[143:144]
	s_waitcnt vmcnt(4)
	v_add_f64 v[18:19], v[114:115], -v[18:19]
	s_waitcnt vmcnt(2)
	v_add_f64 v[10:11], v[122:123], -v[10:11]
	s_waitcnt vmcnt(0)
	v_add_f64 v[22:23], v[22:23], v[149:150]
	v_add_f64 v[2:3], v[20:21], v[2:3]
	buffer_load_dword v20, off, s[64:67], 0 offset:628 ; 4-byte Folded Reload
	buffer_load_dword v21, off, s[64:67], 0 offset:632 ; 4-byte Folded Reload
	v_add_f64 v[8:9], v[18:19], v[8:9]
	v_add_f64 v[0:1], v[16:17], v[0:1]
	buffer_load_dword v16, off, s[64:67], 0 offset:708 ; 4-byte Folded Reload
	buffer_load_dword v17, off, s[64:67], 0 offset:712 ; 4-byte Folded Reload
	buffer_load_dword v18, off, s[64:67], 0 offset:692 ; 4-byte Folded Reload
	buffer_load_dword v19, off, s[64:67], 0 offset:696 ; 4-byte Folded Reload
	v_add_f64 v[22:23], v[22:23], v[2:3]
	buffer_load_dword v2, off, s[64:67], 0 offset:676 ; 4-byte Folded Reload
	buffer_load_dword v3, off, s[64:67], 0 offset:680 ; 4-byte Folded Reload
	v_add_f64 v[0:1], v[10:11], v[0:1]
	s_waitcnt vmcnt(6)
	v_add_f64 v[20:21], v[124:125], -v[20:21]
	s_waitcnt vmcnt(4)
	v_add_f64 v[16:17], v[133:134], -v[16:17]
	s_waitcnt vmcnt(2)
	v_add_f64 v[18:19], v[18:19], v[155:156]
	s_waitcnt vmcnt(0)
	v_add_f64 v[24:25], v[106:107], -v[2:3]
	v_add_f64 v[8:9], v[20:21], v[8:9]
	v_add_f64 v[20:21], v[12:13], v[14:15]
	;; [unrolled: 1-line block ×10, first 2 shown]
	v_mul_u32_u24_e32 v16, 17, v128
	v_lshlrev_b32_e32 v16, 4, v16
	ds_write_b128 v16, v[12:15]
	ds_write_b128 v16, v[8:11] offset:16
	ds_write_b128 v16, v[4:7] offset:32
	;; [unrolled: 1-line block ×9, first 2 shown]
	buffer_load_dword v0, off, s[64:67], 0 offset:100 ; 4-byte Folded Reload
	buffer_load_dword v1, off, s[64:67], 0 offset:104 ; 4-byte Folded Reload
	buffer_load_dword v2, off, s[64:67], 0 offset:108 ; 4-byte Folded Reload
	buffer_load_dword v3, off, s[64:67], 0 offset:112 ; 4-byte Folded Reload
	s_waitcnt vmcnt(0)
	ds_write_b128 v16, v[0:3] offset:160
	buffer_load_dword v0, off, s[64:67], 0 offset:84 ; 4-byte Folded Reload
	buffer_load_dword v1, off, s[64:67], 0 offset:88 ; 4-byte Folded Reload
	buffer_load_dword v2, off, s[64:67], 0 offset:92 ; 4-byte Folded Reload
	buffer_load_dword v3, off, s[64:67], 0 offset:96 ; 4-byte Folded Reload
	s_waitcnt vmcnt(0)
	ds_write_b128 v16, v[0:3] offset:176
	;; [unrolled: 6-line block ×7, first 2 shown]
.LBB0_7:
	s_or_b64 exec, exec, s[0:1]
	s_waitcnt lgkmcnt(0)
	; wave barrier
	s_waitcnt lgkmcnt(0)
	ds_read_b128 v[12:15], v255
	ds_read_b128 v[28:31], v255 offset:7344
	ds_read_b128 v[24:27], v255 offset:14688
	;; [unrolled: 1-line block ×5, first 2 shown]
	buffer_load_dword v212, off, s[64:67], 0 ; 4-byte Folded Reload
	s_movk_i32 s0, 0x66
	ds_read_b128 v[4:7], v255 offset:1632
	ds_read_b128 v[48:51], v255 offset:8976
	;; [unrolled: 1-line block ×5, first 2 shown]
	s_mov_b32 s4, 0xf0f1
	s_mov_b32 s13, 0xbfebb67a
	;; [unrolled: 1-line block ×17, first 2 shown]
	s_waitcnt vmcnt(0)
	v_add_co_u32_e64 v134, s[0:1], s0, v212
	s_movk_i32 s0, 0x99
	v_add_co_u32_e64 v133, s[0:1], s0, v212
	s_movk_i32 s0, 0xcc
	;; [unrolled: 2-line block ×6, first 2 shown]
	v_mul_lo_u16_sdwa v16, v212, s0 dst_sel:DWORD dst_unused:UNUSED_PAD src0_sel:BYTE_0 src1_sel:DWORD
	v_lshrrev_b16_e32 v70, 12, v16
	v_mul_lo_u16_e32 v16, 17, v70
	v_sub_u16_e32 v71, v212, v16
	v_lshlrev_b16_e32 v16, 1, v71
	v_and_b32_e32 v16, 0xfe, v16
	v_lshlrev_b32_e32 v16, 4, v16
	global_load_dwordx4 v[226:229], v16, s[2:3] offset:16
	global_load_dwordx4 v[148:151], v16, s[2:3]
	v_mul_lo_u16_sdwa v16, v128, s0 dst_sel:DWORD dst_unused:UNUSED_PAD src0_sel:BYTE_0 src1_sel:DWORD
	v_lshrrev_b16_e32 v72, 12, v16
	v_mul_lo_u16_e32 v16, 17, v72
	v_sub_u16_e32 v16, v128, v16
	v_and_b32_e32 v73, 0xff, v16
	v_lshlrev_b32_e32 v16, 5, v73
	global_load_dwordx4 v[152:155], v16, s[2:3] offset:16
	global_load_dwordx4 v[156:159], v16, s[2:3]
	v_mul_lo_u16_sdwa v16, v134, s0 dst_sel:DWORD dst_unused:UNUSED_PAD src0_sel:BYTE_0 src1_sel:DWORD
	v_lshrrev_b16_e32 v74, 12, v16
	v_mul_lo_u16_e32 v16, 17, v74
	v_sub_u16_e32 v16, v134, v16
	;; [unrolled: 8-line block ×4, first 2 shown]
	v_and_b32_e32 v79, 0xff, v16
	v_lshlrev_b32_e32 v16, 5, v79
	global_load_dwordx4 v[176:179], v16, s[2:3] offset:16
	global_load_dwordx4 v[180:183], v16, s[2:3]
	v_mul_u32_u24_sdwa v16, v131, s4 dst_sel:DWORD dst_unused:UNUSED_PAD src0_sel:WORD_0 src1_sel:DWORD
	v_lshrrev_b32_e32 v80, 20, v16
	v_mul_lo_u16_e32 v16, 17, v80
	v_sub_u16_e32 v81, v131, v16
	v_lshlrev_b16_e32 v16, 1, v81
	v_lshlrev_b32_e32 v16, 4, v16
	global_load_dwordx4 v[188:191], v16, s[2:3]
	global_load_dwordx4 v[184:187], v16, s[2:3] offset:16
	v_mul_u32_u24_sdwa v16, v130, s4 dst_sel:DWORD dst_unused:UNUSED_PAD src0_sel:WORD_0 src1_sel:DWORD
	v_lshrrev_b32_e32 v82, 20, v16
	v_mul_lo_u16_e32 v16, 17, v82
	v_sub_u16_e32 v83, v130, v16
	v_lshlrev_b16_e32 v16, 1, v83
	v_lshlrev_b32_e32 v16, 4, v16
	global_load_dwordx4 v[192:195], v16, s[2:3] offset:16
	global_load_dwordx4 v[196:199], v16, s[2:3]
	v_mul_u32_u24_sdwa v16, v129, s4 dst_sel:DWORD dst_unused:UNUSED_PAD src0_sel:WORD_0 src1_sel:DWORD
	v_lshrrev_b32_e32 v84, 20, v16
	v_mul_lo_u16_e32 v16, 17, v84
	v_sub_u16_e32 v85, v129, v16
	v_lshlrev_b16_e32 v16, 1, v85
	s_movk_i32 s0, 0x198
	v_lshlrev_b32_e32 v16, 4, v16
	v_add_co_u32_e64 v135, s[0:1], s0, v212
	global_load_dwordx4 v[204:207], v16, s[2:3]
	global_load_dwordx4 v[200:203], v16, s[2:3] offset:16
	v_mul_u32_u24_sdwa v16, v135, s4 dst_sel:DWORD dst_unused:UNUSED_PAD src0_sel:WORD_0 src1_sel:DWORD
	v_lshrrev_b32_e32 v86, 20, v16
	v_mul_lo_u16_e32 v16, 17, v86
	v_sub_u16_e32 v87, v135, v16
	v_lshlrev_b16_e32 v16, 1, v87
	v_lshlrev_b32_e32 v16, 4, v16
	global_load_dwordx4 v[213:216], v16, s[2:3]
	ds_read_b128 v[64:67], v255 offset:17136
	ds_read_b128 v[60:63], v255 offset:3264
	;; [unrolled: 1-line block ×3, first 2 shown]
	global_load_dwordx4 v[208:211], v16, s[2:3] offset:16
	ds_read_b128 v[92:95], v255 offset:17952
	ds_read_b128 v[56:59], v255 offset:4080
	;; [unrolled: 1-line block ×13, first 2 shown]
	s_mov_b32 s4, 0xe8584caa
	s_mov_b32 s5, 0x3febb67a
	;; [unrolled: 1-line block ×3, first 2 shown]
	s_movk_i32 s0, 0xa1
	s_mov_b32 s1, s5
	s_waitcnt vmcnt(17) lgkmcnt(14)
	v_mul_f64 v[140:141], v[24:25], v[228:229]
	s_waitcnt vmcnt(16)
	v_mul_f64 v[68:69], v[30:31], v[150:151]
	v_mul_f64 v[136:137], v[28:29], v[150:151]
	;; [unrolled: 1-line block ×3, first 2 shown]
	s_waitcnt vmcnt(14)
	v_mul_f64 v[142:143], v[38:39], v[158:159]
	v_mul_f64 v[144:145], v[36:37], v[158:159]
	v_fma_f64 v[146:147], v[28:29], v[148:149], -v[68:69]
	buffer_store_dword v148, off, s[64:67], 0 offset:404 ; 4-byte Folded Spill
	s_nop 0
	buffer_store_dword v149, off, s[64:67], 0 offset:408 ; 4-byte Folded Spill
	buffer_store_dword v150, off, s[64:67], 0 offset:412 ; 4-byte Folded Spill
	;; [unrolled: 1-line block ×3, first 2 shown]
	v_fma_f64 v[26:27], v[26:27], v[226:227], v[140:141]
	v_mul_f64 v[28:29], v[42:43], v[154:155]
	v_fma_f64 v[138:139], v[24:25], v[226:227], -v[138:139]
	v_mul_f64 v[24:25], v[40:41], v[154:155]
	v_fma_f64 v[140:141], v[36:37], v[156:157], -v[142:143]
	buffer_store_dword v156, off, s[64:67], 0 offset:436 ; 4-byte Folded Spill
	s_nop 0
	buffer_store_dword v157, off, s[64:67], 0 offset:440 ; 4-byte Folded Spill
	buffer_store_dword v158, off, s[64:67], 0 offset:444 ; 4-byte Folded Spill
	;; [unrolled: 1-line block ×3, first 2 shown]
	s_waitcnt vmcnt(20)
	v_mul_f64 v[36:37], v[48:49], v[166:167]
	v_fma_f64 v[136:137], v[30:31], v[148:149], v[136:137]
	v_mul_f64 v[30:31], v[50:51], v[166:167]
	v_fma_f64 v[142:143], v[38:39], v[156:157], v[144:145]
	v_fma_f64 v[144:145], v[40:41], v[152:153], -v[28:29]
	buffer_store_dword v152, off, s[64:67], 0 offset:420 ; 4-byte Folded Spill
	s_nop 0
	buffer_store_dword v153, off, s[64:67], 0 offset:424 ; 4-byte Folded Spill
	buffer_store_dword v154, off, s[64:67], 0 offset:428 ; 4-byte Folded Spill
	;; [unrolled: 1-line block ×3, first 2 shown]
	v_mul_f64 v[28:29], v[46:47], v[162:163]
	s_waitcnt vmcnt(22)
	v_mul_f64 v[40:41], v[54:55], v[174:175]
	v_mul_f64 v[38:39], v[44:45], v[162:163]
	v_fma_f64 v[150:151], v[48:49], v[164:165], -v[30:31]
	buffer_store_dword v164, off, s[64:67], 0 offset:468 ; 4-byte Folded Spill
	s_nop 0
	buffer_store_dword v165, off, s[64:67], 0 offset:472 ; 4-byte Folded Spill
	buffer_store_dword v166, off, s[64:67], 0 offset:476 ; 4-byte Folded Spill
	buffer_store_dword v167, off, s[64:67], 0 offset:480 ; 4-byte Folded Spill
	v_mul_f64 v[30:31], v[66:67], v[170:171]
	s_waitcnt vmcnt(18) lgkmcnt(3)
	v_mul_f64 v[48:49], v[118:119], v[202:203]
	v_fma_f64 v[154:155], v[44:45], v[160:161], -v[28:29]
	buffer_store_dword v160, off, s[64:67], 0 offset:452 ; 4-byte Folded Spill
	s_nop 0
	buffer_store_dword v161, off, s[64:67], 0 offset:456 ; 4-byte Folded Spill
	buffer_store_dword v162, off, s[64:67], 0 offset:460 ; 4-byte Folded Spill
	;; [unrolled: 1-line block ×3, first 2 shown]
	v_fma_f64 v[158:159], v[52:53], v[172:173], -v[40:41]
	v_mul_f64 v[28:29], v[64:65], v[170:171]
	v_mul_f64 v[40:41], v[98:99], v[190:191]
	v_fma_f64 v[162:163], v[64:65], v[168:169], -v[30:31]
	v_mul_f64 v[30:31], v[94:95], v[178:179]
	v_mul_f64 v[44:45], v[108:109], v[194:195]
	v_fma_f64 v[148:149], v[42:43], v[152:153], v[24:25]
	v_mul_f64 v[24:25], v[52:53], v[174:175]
	buffer_store_dword v172, off, s[64:67], 0 offset:500 ; 4-byte Folded Spill
	s_nop 0
	buffer_store_dword v173, off, s[64:67], 0 offset:504 ; 4-byte Folded Spill
	buffer_store_dword v174, off, s[64:67], 0 offset:508 ; 4-byte Folded Spill
	;; [unrolled: 1-line block ×4, first 2 shown]
	s_nop 0
	buffer_store_dword v169, off, s[64:67], 0 offset:488 ; 4-byte Folded Spill
	buffer_store_dword v170, off, s[64:67], 0 offset:492 ; 4-byte Folded Spill
	;; [unrolled: 1-line block ×3, first 2 shown]
	v_fma_f64 v[170:171], v[92:93], v[176:177], -v[30:31]
	v_fma_f64 v[152:153], v[50:51], v[164:165], v[36:37]
	v_mul_f64 v[36:37], v[88:89], v[182:183]
	v_mul_f64 v[30:31], v[100:101], v[186:187]
	v_add_f64 v[52:53], v[146:147], v[138:139]
	v_fma_f64 v[50:51], v[116:117], v[200:201], -v[48:49]
	v_fma_f64 v[156:157], v[46:47], v[160:161], v[38:39]
	v_mul_f64 v[38:39], v[92:93], v[178:179]
	v_mul_f64 v[46:47], v[114:115], v[206:207]
	s_waitcnt vmcnt(29) lgkmcnt(1)
	v_mul_f64 v[48:49], v[120:121], v[215:216]
	v_fma_f64 v[92:93], v[52:53], -0.5, v[12:13]
	v_fma_f64 v[160:161], v[54:55], v[172:173], v[24:25]
	v_mul_f64 v[24:25], v[90:91], v[182:183]
	v_fma_f64 v[164:165], v[66:67], v[168:169], v[28:29]
	v_mul_f64 v[28:29], v[96:97], v[190:191]
	v_fma_f64 v[54:55], v[96:97], v[188:189], -v[40:41]
	v_add_f64 v[96:97], v[140:141], v[144:145]
	v_fma_f64 v[166:167], v[88:89], v[180:181], -v[24:25]
	buffer_store_dword v180, off, s[64:67], 0 offset:532 ; 4-byte Folded Spill
	s_nop 0
	buffer_store_dword v181, off, s[64:67], 0 offset:536 ; 4-byte Folded Spill
	buffer_store_dword v182, off, s[64:67], 0 offset:540 ; 4-byte Folded Spill
	buffer_store_dword v183, off, s[64:67], 0 offset:544 ; 4-byte Folded Spill
	buffer_store_dword v176, off, s[64:67], 0 offset:516 ; 4-byte Folded Spill
	s_nop 0
	buffer_store_dword v177, off, s[64:67], 0 offset:520 ; 4-byte Folded Spill
	buffer_store_dword v178, off, s[64:67], 0 offset:524 ; 4-byte Folded Spill
	buffer_store_dword v179, off, s[64:67], 0 offset:528 ; 4-byte Folded Spill
	;; [unrolled: 5-line block ×3, first 2 shown]
	v_mul_f64 v[24:25], v[102:103], v[186:187]
	s_waitcnt vmcnt(40) lgkmcnt(0)
	v_mul_f64 v[88:89], v[126:127], v[210:211]
	v_fma_f64 v[96:97], v[96:97], -0.5, v[8:9]
	v_fma_f64 v[64:65], v[100:101], v[184:185], -v[24:25]
	buffer_store_dword v184, off, s[64:67], 0 offset:548 ; 4-byte Folded Spill
	s_nop 0
	buffer_store_dword v185, off, s[64:67], 0 offset:552 ; 4-byte Folded Spill
	buffer_store_dword v186, off, s[64:67], 0 offset:556 ; 4-byte Folded Spill
	;; [unrolled: 1-line block ×3, first 2 shown]
	v_mul_f64 v[24:25], v[110:111], v[194:195]
	v_fma_f64 v[52:53], v[124:125], v[208:209], -v[88:89]
	v_add_f64 v[88:89], v[136:137], v[26:27]
	v_add_f64 v[100:101], v[146:147], -v[138:139]
	v_fma_f64 v[40:41], v[108:109], v[192:193], -v[24:25]
	v_mul_f64 v[24:25], v[116:117], v[202:203]
	v_add_f64 v[108:109], v[152:153], v[156:157]
	v_fma_f64 v[108:109], v[108:109], -0.5, v[6:7]
	v_fma_f64 v[168:169], v[90:91], v[180:181], v[36:37]
	v_fma_f64 v[172:173], v[94:95], v[176:177], v[38:39]
	;; [unrolled: 1-line block ×3, first 2 shown]
	v_mul_f64 v[28:29], v[106:107], v[198:199]
	v_mul_f64 v[36:37], v[104:105], v[198:199]
	;; [unrolled: 1-line block ×3, first 2 shown]
	v_add_f64 v[94:95], v[136:137], -v[26:27]
	v_fma_f64 v[98:99], v[88:89], -0.5, v[14:15]
	v_fma_f64 v[38:39], v[104:105], v[196:197], -v[28:29]
	v_fma_f64 v[28:29], v[112:113], v[204:205], -v[46:47]
	v_mul_f64 v[46:47], v[122:123], v[215:216]
	v_fma_f64 v[68:69], v[102:103], v[184:185], v[30:31]
	v_mul_f64 v[30:31], v[112:113], v[206:207]
	buffer_store_dword v196, off, s[64:67], 0 offset:596 ; 4-byte Folded Spill
	s_nop 0
	buffer_store_dword v197, off, s[64:67], 0 offset:600 ; 4-byte Folded Spill
	buffer_store_dword v198, off, s[64:67], 0 offset:604 ; 4-byte Folded Spill
	buffer_store_dword v199, off, s[64:67], 0 offset:608 ; 4-byte Folded Spill
	buffer_store_dword v192, off, s[64:67], 0 offset:580 ; 4-byte Folded Spill
	s_nop 0
	buffer_store_dword v193, off, s[64:67], 0 offset:584 ; 4-byte Folded Spill
	buffer_store_dword v194, off, s[64:67], 0 offset:588 ; 4-byte Folded Spill
	buffer_store_dword v195, off, s[64:67], 0 offset:592 ; 4-byte Folded Spill
	buffer_store_dword v204, off, s[64:67], 0 offset:644 ; 4-byte Folded Spill
	s_nop 0
	buffer_store_dword v205, off, s[64:67], 0 offset:648 ; 4-byte Folded Spill
	buffer_store_dword v206, off, s[64:67], 0 offset:652 ; 4-byte Folded Spill
	buffer_store_dword v207, off, s[64:67], 0 offset:656 ; 4-byte Folded Spill
	buffer_store_dword v200, off, s[64:67], 0 offset:628 ; 4-byte Folded Spill
	s_nop 0
	buffer_store_dword v201, off, s[64:67], 0 offset:632 ; 4-byte Folded Spill
	buffer_store_dword v202, off, s[64:67], 0 offset:636 ; 4-byte Folded Spill
	buffer_store_dword v203, off, s[64:67], 0 offset:640 ; 4-byte Folded Spill
	v_fma_f64 v[88:89], v[94:95], s[12:13], v[92:93]
	v_fma_f64 v[46:47], v[120:121], v[213:214], -v[46:47]
	buffer_store_dword v213, off, s[64:67], 0 offset:676 ; 4-byte Folded Spill
	s_nop 0
	buffer_store_dword v214, off, s[64:67], 0 offset:680 ; 4-byte Folded Spill
	buffer_store_dword v215, off, s[64:67], 0 offset:684 ; 4-byte Folded Spill
	;; [unrolled: 1-line block ×4, first 2 shown]
	s_nop 0
	buffer_store_dword v209, off, s[64:67], 0 offset:664 ; 4-byte Folded Spill
	buffer_store_dword v210, off, s[64:67], 0 offset:668 ; 4-byte Folded Spill
	;; [unrolled: 1-line block ×3, first 2 shown]
	v_add_f64 v[102:103], v[142:143], -v[148:149]
	v_add_f64 v[112:113], v[152:153], -v[156:157]
	s_waitcnt lgkmcnt(0)
	; wave barrier
	s_waitcnt vmcnt(63) expcnt(7) lgkmcnt(15)
	v_fma_f64 v[42:43], v[106:107], v[196:197], v[36:37]
	v_fma_f64 v[36:37], v[110:111], v[192:193], v[44:45]
	v_add_f64 v[106:107], v[140:141], -v[144:145]
	v_fma_f64 v[44:45], v[118:119], v[200:201], v[24:25]
	v_add_f64 v[24:25], v[12:13], v[146:147]
	v_fma_f64 v[12:13], v[94:95], s[4:5], v[92:93]
	v_fma_f64 v[66:67], v[122:123], v[213:214], v[48:49]
	;; [unrolled: 1-line block ×3, first 2 shown]
	v_add_f64 v[90:91], v[14:15], v[136:137]
	v_add_f64 v[92:93], v[8:9], v[140:141]
	v_add_f64 v[94:95], v[142:143], v[148:149]
	v_fma_f64 v[14:15], v[100:101], s[12:13], v[98:99]
	v_fma_f64 v[30:31], v[114:115], v[204:205], v[30:31]
	v_add_f64 v[114:115], v[150:151], -v[154:155]
	v_add_f64 v[118:119], v[160:161], -v[164:165]
	;; [unrolled: 1-line block ×3, first 2 shown]
	v_add_f64 v[26:27], v[90:91], v[26:27]
	v_fma_f64 v[90:91], v[100:101], s[4:5], v[98:99]
	v_add_f64 v[100:101], v[150:151], v[154:155]
	v_add_f64 v[98:99], v[10:11], v[142:143]
	v_add_f64 v[8:9], v[92:93], v[144:145]
	v_fma_f64 v[104:105], v[94:95], -0.5, v[10:11]
	v_fma_f64 v[92:93], v[102:103], s[4:5], v[96:97]
	v_fma_f64 v[96:97], v[102:103], s[12:13], v[96:97]
	v_add_f64 v[102:103], v[4:5], v[150:151]
	v_add_f64 v[126:127], v[168:169], -v[172:173]
	v_fma_f64 v[110:111], v[100:101], -0.5, v[4:5]
	v_add_f64 v[10:11], v[98:99], v[148:149]
	v_add_f64 v[136:137], v[54:55], v[64:65]
	v_fma_f64 v[94:95], v[106:107], s[12:13], v[104:105]
	v_fma_f64 v[98:99], v[106:107], s[4:5], v[104:105]
	v_add_f64 v[106:107], v[6:7], v[152:153]
	v_add_f64 v[4:5], v[102:103], v[154:155]
	;; [unrolled: 1-line block ×3, first 2 shown]
	v_fma_f64 v[100:101], v[112:113], s[4:5], v[110:111]
	v_fma_f64 v[104:105], v[112:113], s[12:13], v[110:111]
	v_add_f64 v[110:111], v[0:1], v[158:159]
	v_add_f64 v[112:113], v[160:161], v[164:165]
	;; [unrolled: 1-line block ×4, first 2 shown]
	v_fma_f64 v[106:107], v[114:115], s[4:5], v[108:109]
	v_fma_f64 v[116:117], v[102:103], -0.5, v[0:1]
	v_fma_f64 v[102:103], v[114:115], s[12:13], v[108:109]
	v_add_f64 v[114:115], v[2:3], v[160:161]
	v_add_f64 v[0:1], v[110:111], v[162:163]
	;; [unrolled: 1-line block ×3, first 2 shown]
	v_fma_f64 v[120:121], v[112:113], -0.5, v[2:3]
	v_add_f64 v[140:141], v[166:167], -v[170:171]
	v_fma_f64 v[136:137], v[136:137], -0.5, v[56:57]
	v_fma_f64 v[108:109], v[118:119], s[4:5], v[116:117]
	v_fma_f64 v[112:113], v[118:119], s[12:13], v[116:117]
	v_add_f64 v[116:117], v[60:61], v[166:167]
	v_add_f64 v[118:119], v[168:169], v[172:173]
	v_fma_f64 v[124:125], v[110:111], -0.5, v[60:61]
	v_add_f64 v[2:3], v[114:115], v[164:165]
	v_fma_f64 v[110:111], v[122:123], s[12:13], v[120:121]
	v_fma_f64 v[114:115], v[122:123], s[4:5], v[120:121]
	v_add_f64 v[122:123], v[62:63], v[168:169]
	v_add_f64 v[142:143], v[174:175], -v[68:69]
	v_add_f64 v[60:61], v[116:117], v[170:171]
	v_fma_f64 v[138:139], v[118:119], -0.5, v[62:63]
	v_fma_f64 v[116:117], v[126:127], s[4:5], v[124:125]
	v_fma_f64 v[120:121], v[126:127], s[12:13], v[124:125]
	v_add_f64 v[124:125], v[56:57], v[54:55]
	v_add_f64 v[126:127], v[174:175], v[68:69]
	;; [unrolled: 1-line block ×4, first 2 shown]
	v_add_f64 v[54:55], v[54:55], -v[64:65]
	v_fma_f64 v[118:119], v[140:141], s[12:13], v[138:139]
	v_fma_f64 v[122:123], v[140:141], s[4:5], v[138:139]
	v_add_f64 v[139:140], v[38:39], v[40:41]
	v_add_f64 v[56:57], v[124:125], v[64:65]
	v_fma_f64 v[146:147], v[126:127], -0.5, v[58:59]
	v_fma_f64 v[124:125], v[142:143], s[4:5], v[136:137]
	v_fma_f64 v[137:138], v[142:143], s[12:13], v[136:137]
	v_add_f64 v[58:59], v[144:145], v[68:69]
	v_add_f64 v[64:65], v[42:43], v[36:37]
	;; [unrolled: 1-line block ×3, first 2 shown]
	v_add_f64 v[143:144], v[42:43], -v[36:37]
	v_add_f64 v[42:43], v[34:35], v[42:43]
	v_fma_f64 v[141:142], v[139:140], -0.5, v[32:33]
	v_fma_f64 v[126:127], v[54:55], s[12:13], v[146:147]
	v_add_f64 v[148:149], v[28:29], v[50:51]
	v_fma_f64 v[139:140], v[54:55], s[4:5], v[146:147]
	v_fma_f64 v[54:55], v[64:65], -0.5, v[34:35]
	v_add_f64 v[64:65], v[38:39], -v[40:41]
	v_add_f64 v[32:33], v[68:69], v[40:41]
	v_add_f64 v[68:69], v[20:21], v[28:29]
	v_add_f64 v[34:35], v[42:43], v[36:37]
	v_add_f64 v[36:37], v[30:31], v[44:45]
	v_fma_f64 v[38:39], v[143:144], s[4:5], v[141:142]
	v_fma_f64 v[145:146], v[148:149], -0.5, v[20:21]
	v_add_f64 v[147:148], v[30:31], -v[44:45]
	v_fma_f64 v[141:142], v[143:144], s[12:13], v[141:142]
	v_fma_f64 v[40:41], v[64:65], s[12:13], v[54:55]
	;; [unrolled: 1-line block ×3, first 2 shown]
	v_add_f64 v[20:21], v[68:69], v[50:51]
	v_add_f64 v[54:55], v[46:47], v[52:53]
	;; [unrolled: 1-line block ×4, first 2 shown]
	v_fma_f64 v[36:37], v[36:37], -0.5, v[22:23]
	v_add_f64 v[28:29], v[28:29], -v[50:51]
	v_fma_f64 v[42:43], v[147:148], s[4:5], v[145:146]
	v_fma_f64 v[64:65], v[147:148], s[12:13], v[145:146]
	v_add_f64 v[50:51], v[16:17], v[46:47]
	v_fma_f64 v[54:55], v[54:55], -0.5, v[16:17]
	v_add_f64 v[145:146], v[66:67], -v[48:49]
	v_add_f64 v[147:148], v[18:19], v[66:67]
	v_fma_f64 v[68:69], v[68:69], -0.5, v[18:19]
	v_add_f64 v[149:150], v[46:47], -v[52:53]
	v_add_f64 v[22:23], v[30:31], v[44:45]
	v_fma_f64 v[44:45], v[28:29], s[12:13], v[36:37]
	v_fma_f64 v[66:67], v[28:29], s[4:5], v[36:37]
	v_mad_legacy_u16 v36, v70, 51, v71
	v_mov_b32_e32 v136, 4
	v_lshlrev_b32_sdwa v36, v136, v36 dst_sel:DWORD dst_unused:UNUSED_PAD src0_sel:DWORD src1_sel:BYTE_0
	ds_write_b128 v36, v[24:27]
	ds_write_b128 v36, v[12:15] offset:272
	v_mul_u32_u24_e32 v12, 51, v72
	v_add_lshl_u32 v12, v12, v73, 4
	buffer_store_dword v36, off, s[64:67], 0 offset:740 ; 4-byte Folded Spill
	ds_write_b128 v36, v[88:91] offset:544
	ds_write_b128 v12, v[8:11]
	ds_write_b128 v12, v[92:95] offset:272
	v_mul_u32_u24_e32 v8, 51, v74
	v_add_lshl_u32 v8, v8, v75, 4
	buffer_store_dword v12, off, s[64:67], 0 offset:732 ; 4-byte Folded Spill
	ds_write_b128 v12, v[96:99] offset:544
	ds_write_b128 v8, v[4:7]
	ds_write_b128 v8, v[100:103] offset:272
	v_mul_u32_u24_e32 v4, 51, v76
	v_add_lshl_u32 v4, v4, v77, 4
	v_add_f64 v[16:17], v[50:51], v[52:53]
	v_fma_f64 v[46:47], v[145:146], s[12:13], v[54:55]
	v_add_f64 v[18:19], v[147:148], v[48:49]
	v_fma_f64 v[48:49], v[149:150], s[4:5], v[68:69]
	buffer_store_dword v8, off, s[64:67], 0 offset:724 ; 4-byte Folded Spill
	ds_write_b128 v8, v[104:107] offset:544
	ds_write_b128 v4, v[0:3]
	ds_write_b128 v4, v[108:111] offset:272
	v_mul_u32_u24_e32 v0, 51, v78
	v_fma_f64 v[28:29], v[145:146], s[4:5], v[54:55]
	v_fma_f64 v[30:31], v[149:150], s[12:13], v[68:69]
	v_add_lshl_u32 v0, v0, v79, 4
	buffer_store_dword v4, off, s[64:67], 0 offset:716 ; 4-byte Folded Spill
	ds_write_b128 v4, v[112:115] offset:544
	ds_write_b128 v0, v[60:63]
	ds_write_b128 v0, v[116:119] offset:272
	buffer_store_dword v0, off, s[64:67], 0 offset:708 ; 4-byte Folded Spill
	ds_write_b128 v0, v[120:123] offset:544
	v_mad_legacy_u16 v0, v80, 51, v81
	v_lshlrev_b32_e32 v0, 4, v0
	ds_write_b128 v0, v[56:59]
	ds_write_b128 v0, v[124:127] offset:272
	buffer_store_dword v0, off, s[64:67], 0 offset:700 ; 4-byte Folded Spill
	ds_write_b128 v0, v[137:140] offset:544
	v_mad_legacy_u16 v0, v82, 51, v83
	v_lshlrev_b32_e32 v250, 4, v0
	v_mad_legacy_u16 v0, v84, 51, v85
	v_lshlrev_b32_e32 v251, 4, v0
	;; [unrolled: 2-line block ×3, first 2 shown]
	ds_write_b128 v250, v[32:35]
	ds_write_b128 v250, v[38:41] offset:272
	ds_write_b128 v250, v[141:144] offset:544
	ds_write_b128 v251, v[20:23]
	ds_write_b128 v251, v[42:45] offset:272
	ds_write_b128 v251, v[64:67] offset:544
	ds_write_b128 v0, v[16:19]
	ds_write_b128 v0, v[28:31] offset:272
	buffer_store_dword v0, off, s[64:67], 0 offset:692 ; 4-byte Folded Spill
	ds_write_b128 v0, v[46:49] offset:544
	v_lshlrev_b32_e32 v0, 7, v212
	s_waitcnt lgkmcnt(0)
	; wave barrier
	s_waitcnt lgkmcnt(0)
	global_load_dwordx4 v[192:195], v0, s[2:3] offset:544
	global_load_dwordx4 v[188:191], v0, s[2:3] offset:560
	;; [unrolled: 1-line block ×8, first 2 shown]
	v_mul_lo_u16_sdwa v16, v134, s0 dst_sel:DWORD dst_unused:UNUSED_PAD src0_sel:BYTE_0 src1_sel:DWORD
	v_lshrrev_b16_e32 v16, 13, v16
	v_mul_lo_u16_e32 v16, 51, v16
	v_sub_u16_e32 v137, v134, v16
	v_mov_b32_e32 v16, 7
	v_lshlrev_b32_sdwa v86, v16, v137 dst_sel:DWORD dst_unused:UNUSED_PAD src0_sel:DWORD src1_sel:BYTE_0
	ds_read_b128 v[0:3], v255 offset:2448
	ds_read_b128 v[4:7], v255 offset:4896
	;; [unrolled: 1-line block ×6, first 2 shown]
	global_load_dwordx4 v[150:153], v86, s[2:3] offset:544
	ds_read_b128 v[28:31], v255 offset:17136
	ds_read_b128 v[32:35], v255 offset:19584
	;; [unrolled: 1-line block ×4, first 2 shown]
	global_load_dwordx4 v[146:149], v86, s[2:3] offset:560
	ds_read_b128 v[44:47], v255 offset:8160
	ds_read_b128 v[60:63], v255 offset:10608
	ds_read_b128 v[64:67], v255 offset:13056
	ds_read_b128 v[68:71], v255 offset:15504
	global_load_dwordx4 v[142:145], v86, s[2:3] offset:576
	ds_read_b128 v[74:77], v255 offset:17952
	ds_read_b128 v[78:81], v255 offset:20400
	;; [unrolled: 1-line block ×3, first 2 shown]
	global_load_dwordx4 v[138:141], v86, s[2:3] offset:592
	ds_read_b128 v[116:119], v255 offset:6528
	ds_read_b128 v[120:123], v255 offset:8976
	global_load_dwordx4 v[154:157], v86, s[2:3] offset:608
	global_load_dwordx4 v[158:161], v86, s[2:3] offset:624
	ds_read_b128 v[124:127], v255 offset:11424
	s_mov_b32 s0, 0xe8584cab
	s_mov_b32 s28, s0
	v_lshlrev_b32_sdwa v254, v136, v137 dst_sel:DWORD dst_unused:UNUSED_PAD src0_sel:DWORD src1_sel:BYTE_0
	s_waitcnt vmcnt(13) lgkmcnt(14)
	v_mul_f64 v[18:19], v[0:1], v[194:195]
	v_mul_f64 v[16:17], v[2:3], v[194:195]
	s_waitcnt vmcnt(12)
	v_mul_f64 v[48:49], v[6:7], v[190:191]
	v_mul_f64 v[50:51], v[4:5], v[190:191]
	v_fma_f64 v[18:19], v[2:3], v[192:193], v[18:19]
	s_waitcnt vmcnt(11)
	v_mul_f64 v[2:3], v[8:9], v[182:183]
	v_fma_f64 v[16:17], v[0:1], v[192:193], -v[16:17]
	v_fma_f64 v[88:89], v[4:5], v[188:189], -v[48:49]
	v_mul_f64 v[0:1], v[10:11], v[182:183]
	s_waitcnt vmcnt(10)
	v_mul_f64 v[4:5], v[14:15], v[174:175]
	v_fma_f64 v[90:91], v[6:7], v[188:189], v[50:51]
	v_mul_f64 v[6:7], v[12:13], v[174:175]
	s_waitcnt vmcnt(9)
	v_mul_f64 v[50:51], v[20:21], v[198:199]
	v_fma_f64 v[96:97], v[10:11], v[180:181], v[2:3]
	s_waitcnt vmcnt(8)
	v_mul_f64 v[2:3], v[24:25], v[186:187]
	v_mul_f64 v[48:49], v[22:23], v[198:199]
	v_fma_f64 v[94:95], v[8:9], v[180:181], -v[0:1]
	v_fma_f64 v[92:93], v[12:13], v[172:173], -v[4:5]
	v_mul_f64 v[0:1], v[26:27], v[186:187]
	s_waitcnt vmcnt(7) lgkmcnt(13)
	v_mul_f64 v[4:5], v[30:31], v[178:179]
	v_fma_f64 v[98:99], v[14:15], v[172:173], v[6:7]
	v_mul_f64 v[6:7], v[28:29], v[178:179]
	v_fma_f64 v[106:107], v[26:27], v[184:185], v[2:3]
	s_waitcnt lgkmcnt(11)
	v_mul_f64 v[2:3], v[38:39], v[194:195]
	v_fma_f64 v[100:101], v[22:23], v[196:197], v[50:51]
	s_waitcnt vmcnt(6)
	v_mul_f64 v[8:9], v[34:35], v[170:171]
	v_fma_f64 v[104:105], v[24:25], v[184:185], -v[0:1]
	v_mul_f64 v[0:1], v[32:33], v[170:171]
	v_fma_f64 v[108:109], v[28:29], v[176:177], -v[4:5]
	s_waitcnt lgkmcnt(10)
	v_mul_f64 v[4:5], v[42:43], v[190:191]
	v_fma_f64 v[110:111], v[30:31], v[176:177], v[6:7]
	v_mul_f64 v[6:7], v[40:41], v[190:191]
	v_fma_f64 v[50:51], v[36:37], v[192:193], -v[2:3]
	s_waitcnt lgkmcnt(9)
	v_mul_f64 v[2:3], v[44:45], v[182:183]
	v_mul_f64 v[10:11], v[36:37], v[194:195]
	v_fma_f64 v[114:115], v[34:35], v[168:169], v[0:1]
	v_mul_f64 v[0:1], v[46:47], v[182:183]
	v_fma_f64 v[54:55], v[40:41], v[188:189], -v[4:5]
	s_waitcnt lgkmcnt(8)
	v_mul_f64 v[4:5], v[60:61], v[174:175]
	v_fma_f64 v[52:53], v[42:43], v[188:189], v[6:7]
	s_waitcnt lgkmcnt(7)
	v_mul_f64 v[6:7], v[66:67], v[198:199]
	v_fma_f64 v[56:57], v[46:47], v[180:181], v[2:3]
	s_waitcnt lgkmcnt(6)
	v_mul_f64 v[2:3], v[68:69], v[186:187]
	v_fma_f64 v[102:103], v[20:21], v[196:197], -v[48:49]
	v_fma_f64 v[112:113], v[32:33], v[168:169], -v[8:9]
	v_fma_f64 v[48:49], v[38:39], v[192:193], v[10:11]
	v_mul_f64 v[8:9], v[62:63], v[174:175]
	v_mul_f64 v[10:11], v[64:65], v[198:199]
	v_fma_f64 v[58:59], v[44:45], v[180:181], -v[0:1]
	v_mul_f64 v[0:1], v[70:71], v[186:187]
	v_fma_f64 v[46:47], v[62:63], v[172:173], v[4:5]
	s_waitcnt lgkmcnt(5)
	v_mul_f64 v[4:5], v[76:77], v[178:179]
	v_fma_f64 v[36:37], v[64:65], v[196:197], -v[6:7]
	v_fma_f64 v[64:65], v[70:71], v[184:185], v[2:3]
	s_waitcnt vmcnt(5) lgkmcnt(3)
	v_mul_f64 v[2:3], v[84:85], v[152:153]
	v_fma_f64 v[44:45], v[60:61], v[172:173], -v[8:9]
	v_fma_f64 v[38:39], v[66:67], v[196:197], v[10:11]
	v_mul_f64 v[6:7], v[74:75], v[178:179]
	v_mul_f64 v[8:9], v[80:81], v[170:171]
	v_fma_f64 v[66:67], v[68:69], v[184:185], -v[0:1]
	v_mul_f64 v[0:1], v[78:79], v[170:171]
	v_fma_f64 v[74:75], v[74:75], v[176:177], -v[4:5]
	s_waitcnt vmcnt(4) lgkmcnt(2)
	v_mul_f64 v[4:5], v[118:119], v[148:149]
	v_mul_f64 v[10:11], v[82:83], v[152:153]
	v_fma_f64 v[22:23], v[82:83], v[150:151], -v[2:3]
	buffer_store_dword v150, off, s[64:67], 0 offset:796 ; 4-byte Folded Spill
	s_nop 0
	buffer_store_dword v151, off, s[64:67], 0 offset:800 ; 4-byte Folded Spill
	buffer_store_dword v152, off, s[64:67], 0 offset:804 ; 4-byte Folded Spill
	;; [unrolled: 1-line block ×3, first 2 shown]
	v_fma_f64 v[68:69], v[76:77], v[176:177], v[6:7]
	v_fma_f64 v[76:77], v[78:79], v[168:169], -v[8:9]
	v_mul_f64 v[6:7], v[116:117], v[148:149]
	v_fma_f64 v[78:79], v[80:81], v[168:169], v[0:1]
	ds_read_b128 v[0:3], v255 offset:13872
	v_fma_f64 v[28:29], v[116:117], v[146:147], -v[4:5]
	buffer_store_dword v146, off, s[64:67], 0 offset:780 ; 4-byte Folded Spill
	s_nop 0
	buffer_store_dword v147, off, s[64:67], 0 offset:784 ; 4-byte Folded Spill
	buffer_store_dword v148, off, s[64:67], 0 offset:788 ; 4-byte Folded Spill
	;; [unrolled: 1-line block ×3, first 2 shown]
	s_waitcnt vmcnt(11) lgkmcnt(2)
	v_mul_f64 v[8:9], v[122:123], v[144:145]
	s_waitcnt vmcnt(10) lgkmcnt(1)
	v_mul_f64 v[4:5], v[126:127], v[140:141]
	v_add_f64 v[116:117], v[88:89], v[108:109]
	v_add_f64 v[108:109], v[88:89], -v[108:109]
	v_fma_f64 v[30:31], v[120:121], v[142:143], -v[8:9]
	v_fma_f64 v[42:43], v[124:125], v[138:139], -v[4:5]
	s_waitcnt vmcnt(9) lgkmcnt(0)
	v_mul_f64 v[8:9], v[2:3], v[156:157]
	v_fma_f64 v[32:33], v[0:1], v[154:155], -v[8:9]
	v_fma_f64 v[20:21], v[84:85], v[150:151], v[10:11]
	v_mul_f64 v[10:11], v[120:121], v[144:145]
	buffer_store_dword v142, off, s[64:67], 0 offset:764 ; 4-byte Folded Spill
	s_nop 0
	buffer_store_dword v143, off, s[64:67], 0 offset:768 ; 4-byte Folded Spill
	buffer_store_dword v144, off, s[64:67], 0 offset:772 ; 4-byte Folded Spill
	;; [unrolled: 1-line block ×3, first 2 shown]
	v_add_f64 v[84:85], v[16:17], v[112:113]
	v_add_f64 v[112:113], v[16:17], -v[112:113]
	v_fma_f64 v[24:25], v[118:119], v[146:147], v[6:7]
	v_mul_f64 v[6:7], v[124:125], v[140:141]
	buffer_store_dword v138, off, s[64:67], 0 offset:748 ; 4-byte Folded Spill
	s_nop 0
	buffer_store_dword v139, off, s[64:67], 0 offset:752 ; 4-byte Folded Spill
	buffer_store_dword v140, off, s[64:67], 0 offset:756 ; 4-byte Folded Spill
	;; [unrolled: 1-line block ×3, first 2 shown]
	v_add_f64 v[118:119], v[18:19], v[114:115]
	v_add_f64 v[120:121], v[116:117], v[84:85]
	v_add_f64 v[114:115], v[18:19], -v[114:115]
	v_fma_f64 v[26:27], v[122:123], v[142:143], v[10:11]
	v_mul_f64 v[10:11], v[0:1], v[156:157]
	v_add_f64 v[122:123], v[96:97], v[106:107]
	v_add_f64 v[96:97], v[96:97], -v[106:107]
	v_fma_f64 v[40:41], v[126:127], v[138:139], v[6:7]
	ds_read_b128 v[4:7], v255 offset:16320
	buffer_store_dword v154, off, s[64:67], 0 offset:812 ; 4-byte Folded Spill
	s_nop 0
	buffer_store_dword v155, off, s[64:67], 0 offset:816 ; 4-byte Folded Spill
	buffer_store_dword v156, off, s[64:67], 0 offset:820 ; 4-byte Folded Spill
	;; [unrolled: 1-line block ×3, first 2 shown]
	v_add_f64 v[126:127], v[90:91], v[110:111]
	v_add_f64 v[110:111], v[90:91], -v[110:111]
	s_waitcnt vmcnt(20) lgkmcnt(0)
	v_mul_f64 v[0:1], v[6:7], v[160:161]
	v_add_f64 v[124:125], v[126:127], v[118:119]
	v_fma_f64 v[60:61], v[4:5], v[158:159], -v[0:1]
	v_fma_f64 v[34:35], v[2:3], v[154:155], v[10:11]
	v_mul_f64 v[2:3], v[4:5], v[160:161]
	buffer_store_dword v158, off, s[64:67], 0 offset:828 ; 4-byte Folded Spill
	s_nop 0
	buffer_store_dword v159, off, s[64:67], 0 offset:832 ; 4-byte Folded Spill
	buffer_store_dword v160, off, s[64:67], 0 offset:836 ; 4-byte Folded Spill
	;; [unrolled: 1-line block ×3, first 2 shown]
	v_fma_f64 v[62:63], v[6:7], v[158:159], v[2:3]
	global_load_dwordx4 v[6:9], v86, s[2:3] offset:640
	ds_read_b128 v[0:3], v255 offset:18768
	s_waitcnt vmcnt(0) lgkmcnt(0)
	v_mul_f64 v[4:5], v[2:3], v[8:9]
	v_fma_f64 v[70:71], v[0:1], v[6:7], -v[4:5]
	v_mul_f64 v[0:1], v[0:1], v[8:9]
	buffer_store_dword v6, off, s[64:67], 0 offset:844 ; 4-byte Folded Spill
	s_nop 0
	buffer_store_dword v7, off, s[64:67], 0 offset:848 ; 4-byte Folded Spill
	buffer_store_dword v8, off, s[64:67], 0 offset:852 ; 4-byte Folded Spill
	;; [unrolled: 1-line block ×3, first 2 shown]
	v_fma_f64 v[72:73], v[2:3], v[6:7], v[0:1]
	global_load_dwordx4 v[6:9], v86, s[2:3] offset:656
	ds_read_b128 v[0:3], v255 offset:21216
	v_add_f64 v[86:87], v[94:95], v[104:105]
	v_add_f64 v[94:95], v[94:95], -v[104:105]
	v_add_f64 v[104:105], v[92:93], -v[102:103]
	s_waitcnt vmcnt(0) lgkmcnt(0)
	v_mul_f64 v[4:5], v[2:3], v[8:9]
	v_fma_f64 v[80:81], v[0:1], v[6:7], -v[4:5]
	v_mul_f64 v[0:1], v[0:1], v[8:9]
	buffer_store_dword v6, off, s[64:67], 0 offset:860 ; 4-byte Folded Spill
	s_nop 0
	buffer_store_dword v7, off, s[64:67], 0 offset:864 ; 4-byte Folded Spill
	buffer_store_dword v8, off, s[64:67], 0 offset:868 ; 4-byte Folded Spill
	;; [unrolled: 1-line block ×3, first 2 shown]
	ds_read_b128 v[8:11], v255
	s_waitcnt lgkmcnt(0)
	v_fma_f64 v[16:17], v[84:85], s[24:25], v[8:9]
	v_fma_f64 v[18:19], v[118:119], s[24:25], v[10:11]
	;; [unrolled: 1-line block ×5, first 2 shown]
	v_fma_f64 v[16:17], v[86:87], -0.5, v[16:17]
	v_fma_f64 v[18:19], v[122:123], -0.5, v[18:19]
	v_fma_f64 v[82:83], v[2:3], v[6:7], v[0:1]
	v_add_f64 v[0:1], v[86:87], v[120:121]
	v_add_f64 v[2:3], v[122:123], v[124:125]
	;; [unrolled: 1-line block ×7, first 2 shown]
	v_add_f64 v[102:103], v[98:99], -v[100:101]
	v_add_f64 v[98:99], v[98:99], v[100:101]
	v_add_f64 v[12:13], v[8:9], v[0:1]
	;; [unrolled: 1-line block ×3, first 2 shown]
	ds_read_b128 v[4:7], v255 offset:816
	ds_read_b128 v[0:3], v255 offset:1632
	s_waitcnt lgkmcnt(0)
	; wave barrier
	s_waitcnt lgkmcnt(0)
	v_fma_f64 v[18:19], v[98:99], s[22:23], v[18:19]
	v_fma_f64 v[90:91], v[98:99], s[24:25], v[10:11]
	v_add_f64 v[10:11], v[10:11], v[122:123]
	ds_write_b128 v255, v[12:15]
	v_mul_f64 v[12:13], v[112:113], s[26:27]
	v_mul_f64 v[14:15], v[114:115], s[26:27]
	v_fma_f64 v[90:91], v[118:119], s[20:21], v[90:91]
	v_fma_f64 v[12:13], v[108:109], s[16:17], v[12:13]
	;; [unrolled: 1-line block ×3, first 2 shown]
	v_fma_f64 v[90:91], v[122:123], -0.5, v[90:91]
	v_fma_f64 v[12:13], v[94:95], s[0:1], v[12:13]
	v_fma_f64 v[14:15], v[96:97], s[0:1], v[14:15]
	;; [unrolled: 1-line block ×6, first 2 shown]
	v_add_f64 v[18:19], v[18:19], -v[88:89]
	v_add_f64 v[16:17], v[12:13], v[14:15]
	v_fma_f64 v[14:15], v[88:89], 2.0, v[18:19]
	v_fma_f64 v[88:89], v[92:93], s[24:25], v[8:9]
	v_fma_f64 v[12:13], v[12:13], -2.0, v[16:17]
	ds_write_b128 v255, v[16:19] offset:816
	v_mul_f64 v[16:17], v[104:105], s[30:31]
	v_mul_f64 v[18:19], v[102:103], s[30:31]
	v_fma_f64 v[88:89], v[84:85], s[20:21], v[88:89]
	v_fma_f64 v[16:17], v[112:113], s[16:17], v[16:17]
	v_fma_f64 v[18:19], v[114:115], s[16:17], v[18:19]
	v_fma_f64 v[88:89], v[86:87], -0.5, v[88:89]
	v_fma_f64 v[16:17], v[94:95], s[28:29], v[16:17]
	v_fma_f64 v[18:19], v[96:97], s[28:29], v[18:19]
	;; [unrolled: 1-line block ×5, first 2 shown]
	v_add_f64 v[90:91], v[90:91], -v[100:101]
	v_add_f64 v[88:89], v[16:17], v[18:19]
	v_fma_f64 v[18:19], v[100:101], 2.0, v[90:91]
	v_fma_f64 v[100:101], v[116:117], s[24:25], v[8:9]
	v_fma_f64 v[16:17], v[16:17], -2.0, v[88:89]
	ds_write_b128 v255, v[88:91] offset:1632
	v_add_f64 v[8:9], v[8:9], v[86:87]
	v_add_f64 v[88:89], v[92:93], v[120:121]
	v_add_f64 v[90:91], v[104:105], v[112:113]
	v_fma_f64 v[92:93], v[92:93], s[20:21], v[100:101]
	v_fma_f64 v[8:9], v[88:89], -0.5, v[8:9]
	v_add_f64 v[88:89], v[98:99], v[124:125]
	v_add_f64 v[90:91], v[90:91], -v[108:109]
	v_fma_f64 v[98:99], v[98:99], s[20:21], v[106:107]
	v_fma_f64 v[86:87], v[86:87], -0.5, v[92:93]
	v_fma_f64 v[10:11], v[88:89], -0.5, v[10:11]
	v_add_f64 v[88:89], v[102:103], v[114:115]
	v_fma_f64 v[92:93], v[122:123], -0.5, v[98:99]
	v_add_f64 v[98:99], v[46:47], -v[38:39]
	v_fma_f64 v[10:11], v[90:91], s[28:29], v[10:11]
	v_add_f64 v[88:89], v[88:89], -v[110:111]
	v_mul_f64 v[90:91], v[90:91], s[0:1]
	v_fma_f64 v[8:9], v[88:89], s[0:1], v[8:9]
	v_mul_f64 v[88:89], v[88:89], s[0:1]
	v_fma_f64 v[90:91], v[90:91], 2.0, v[10:11]
	ds_write_b128 v255, v[8:11] offset:2448
	v_fma_f64 v[88:89], v[88:89], -2.0, v[8:9]
	v_mul_f64 v[8:9], v[104:105], s[16:17]
	v_mul_f64 v[10:11], v[102:103], s[16:17]
	v_add_f64 v[102:103], v[46:47], v[38:39]
	v_fma_f64 v[8:9], v[108:109], s[30:31], -v[8:9]
	v_fma_f64 v[10:11], v[110:111], s[30:31], -v[10:11]
	v_fma_f64 v[8:9], v[94:95], s[0:1], v[8:9]
	v_fma_f64 v[10:11], v[96:97], s[0:1], v[10:11]
	;; [unrolled: 1-line block ×6, first 2 shown]
	v_add_f64 v[92:93], v[50:51], v[76:77]
	v_add_f64 v[50:51], v[50:51], -v[76:77]
	v_add_f64 v[76:77], v[48:49], v[78:79]
	v_add_f64 v[48:49], v[48:49], -v[78:79]
	v_add_f64 v[78:79], v[54:55], v[74:75]
	v_add_f64 v[54:55], v[54:55], -v[74:75]
	v_add_f64 v[8:9], v[96:97], v[8:9]
	v_add_f64 v[10:11], v[10:11], -v[94:95]
	v_add_f64 v[74:75], v[52:53], v[68:69]
	v_add_f64 v[52:53], v[52:53], -v[68:69]
	v_add_f64 v[68:69], v[58:59], v[66:67]
	v_add_f64 v[58:59], v[58:59], -v[66:67]
	v_add_f64 v[66:67], v[56:57], v[64:65]
	v_add_f64 v[56:57], v[56:57], -v[64:65]
	v_fma_f64 v[84:85], v[96:97], -2.0, v[8:9]
	v_fma_f64 v[86:87], v[94:95], 2.0, v[10:11]
	ds_write_b128 v255, v[8:11] offset:3264
	v_mul_f64 v[10:11], v[48:49], s[26:27]
	v_fma_f64 v[96:97], v[76:77], s[24:25], v[6:7]
	v_add_f64 v[104:105], v[78:79], v[92:93]
	v_mul_f64 v[8:9], v[50:51], s[26:27]
	v_add_f64 v[108:109], v[74:75], v[76:77]
	v_add_f64 v[64:65], v[44:45], -v[36:37]
	v_fma_f64 v[114:115], v[102:103], s[24:25], v[6:7]
	v_fma_f64 v[10:11], v[52:53], s[16:17], v[10:11]
	v_fma_f64 v[96:97], v[74:75], s[20:21], v[96:97]
	v_add_f64 v[106:107], v[68:69], v[104:105]
	v_fma_f64 v[8:9], v[54:55], s[16:17], v[8:9]
	v_fma_f64 v[114:115], v[76:77], s[20:21], v[114:115]
	;; [unrolled: 1-line block ×3, first 2 shown]
	v_add_f64 v[106:107], v[44:45], v[106:107]
	v_fma_f64 v[8:9], v[58:59], s[0:1], v[8:9]
	v_fma_f64 v[114:115], v[66:67], -0.5, v[114:115]
	v_fma_f64 v[100:101], v[98:99], s[18:19], v[10:11]
	v_fma_f64 v[10:11], v[66:67], -0.5, v[96:97]
	v_add_f64 v[96:97], v[44:45], v[36:37]
	v_add_f64 v[44:45], v[66:67], v[108:109]
	v_fma_f64 v[94:95], v[64:65], s[18:19], v[8:9]
	v_fma_f64 v[8:9], v[92:93], s[24:25], v[4:5]
	v_add_f64 v[36:37], v[36:37], v[106:107]
	v_add_f64 v[106:107], v[64:65], v[50:51]
	v_fma_f64 v[10:11], v[102:103], s[22:23], v[10:11]
	v_fma_f64 v[112:113], v[96:97], s[24:25], v[4:5]
	v_add_f64 v[110:111], v[46:47], v[44:45]
	v_mul_f64 v[44:45], v[64:65], s[30:31]
	v_mul_f64 v[46:47], v[98:99], s[30:31]
	v_fma_f64 v[8:9], v[78:79], s[20:21], v[8:9]
	v_mul_f64 v[64:65], v[64:65], s[16:17]
	v_add_f64 v[106:107], v[106:107], -v[54:55]
	v_add_f64 v[36:37], v[4:5], v[36:37]
	v_fma_f64 v[112:113], v[92:93], s[20:21], v[112:113]
	v_add_f64 v[38:39], v[38:39], v[110:111]
	v_fma_f64 v[44:45], v[50:51], s[16:17], v[44:45]
	v_fma_f64 v[46:47], v[48:49], s[16:17], v[46:47]
	v_fma_f64 v[8:9], v[68:69], -0.5, v[8:9]
	v_add_f64 v[10:11], v[10:11], -v[94:95]
	v_fma_f64 v[112:113], v[68:69], -0.5, v[112:113]
	v_add_f64 v[38:39], v[6:7], v[38:39]
	v_fma_f64 v[44:45], v[58:59], s[28:29], v[44:45]
	v_fma_f64 v[46:47], v[56:57], s[28:29], v[46:47]
	;; [unrolled: 1-line block ×4, first 2 shown]
	v_fma_f64 v[54:55], v[54:55], s[30:31], -v[64:65]
	v_fma_f64 v[64:65], v[78:79], s[24:25], v[4:5]
	v_fma_f64 v[118:119], v[52:53], s[18:19], v[46:47]
	v_fma_f64 v[46:47], v[74:75], s[22:23], v[114:115]
	v_fma_f64 v[74:75], v[74:75], s[24:25], v[6:7]
	v_fma_f64 v[44:45], v[78:79], s[22:23], v[112:113]
	v_add_f64 v[4:5], v[4:5], v[68:69]
	v_add_f64 v[6:7], v[6:7], v[66:67]
	v_fma_f64 v[54:55], v[58:59], s[0:1], v[54:55]
	v_add_f64 v[58:59], v[96:97], v[104:105]
	v_fma_f64 v[64:65], v[96:97], s[20:21], v[64:65]
	v_mul_f64 v[96:97], v[98:99], s[16:17]
	v_fma_f64 v[74:75], v[102:103], s[20:21], v[74:75]
	v_add_f64 v[78:79], v[102:103], v[108:109]
	v_add_f64 v[8:9], v[100:101], v[8:9]
	;; [unrolled: 1-line block ×4, first 2 shown]
	v_add_f64 v[46:47], v[46:47], -v[116:117]
	v_fma_f64 v[64:65], v[68:69], -0.5, v[64:65]
	v_fma_f64 v[96:97], v[52:53], s[30:31], -v[96:97]
	v_fma_f64 v[66:67], v[66:67], -0.5, v[74:75]
	v_add_f64 v[68:69], v[98:99], v[48:49]
	v_fma_f64 v[112:113], v[104:105], s[24:25], v[0:1]
	v_fma_f64 v[56:57], v[56:57], s[0:1], v[96:97]
	v_add_f64 v[96:97], v[26:27], v[62:63]
	v_add_f64 v[68:69], v[68:69], -v[52:53]
	v_fma_f64 v[52:53], v[58:59], -0.5, v[4:5]
	v_fma_f64 v[58:59], v[78:79], -0.5, v[6:7]
	v_fma_f64 v[78:79], v[50:51], s[18:19], v[54:55]
	v_add_f64 v[62:63], v[26:27], -v[62:63]
	v_fma_f64 v[4:5], v[100:101], -2.0, v[8:9]
	v_fma_f64 v[74:75], v[48:49], s[18:19], v[56:57]
	v_fma_f64 v[56:57], v[92:93], s[22:23], v[64:65]
	;; [unrolled: 1-line block ×5, first 2 shown]
	v_add_f64 v[92:93], v[28:29], v[70:71]
	v_add_f64 v[28:29], v[28:29], -v[70:71]
	v_add_f64 v[70:71], v[24:25], v[72:73]
	v_add_f64 v[72:73], v[24:25], -v[72:73]
	v_fma_f64 v[6:7], v[94:95], 2.0, v[10:11]
	v_add_f64 v[58:59], v[64:65], -v[78:79]
	v_mul_f64 v[64:65], v[68:69], s[0:1]
	v_add_f64 v[68:69], v[22:23], v[80:81]
	v_add_f64 v[94:95], v[30:31], v[60:61]
	v_add_f64 v[100:101], v[40:41], -v[34:35]
	v_mul_f64 v[66:67], v[106:107], s[0:1]
	v_add_f64 v[60:61], v[30:31], -v[60:61]
	v_add_f64 v[30:31], v[42:43], -v[32:33]
	v_fma_f64 v[76:77], v[78:79], 2.0, v[58:59]
	v_add_f64 v[78:79], v[22:23], -v[80:81]
	v_add_f64 v[80:81], v[20:21], v[82:83]
	v_add_f64 v[82:83], v[20:21], -v[82:83]
	v_add_f64 v[108:109], v[92:93], v[68:69]
	v_add_f64 v[106:107], v[40:41], v[34:35]
	v_mul_f64 v[26:27], v[100:101], s[30:31]
	v_fma_f64 v[112:113], v[68:69], s[20:21], v[112:113]
	v_fma_f64 v[48:49], v[118:119], -2.0, v[44:45]
	v_mul_f64 v[20:21], v[78:79], s[26:27]
	v_fma_f64 v[24:25], v[80:81], s[24:25], v[2:3]
	v_mul_f64 v[22:23], v[82:83], s[26:27]
	v_add_f64 v[110:111], v[70:71], v[80:81]
	v_fma_f64 v[114:115], v[106:107], s[24:25], v[2:3]
	v_fma_f64 v[26:27], v[82:83], s[16:17], v[26:27]
	v_fma_f64 v[112:113], v[94:95], -0.5, v[112:113]
	v_fma_f64 v[50:51], v[116:117], 2.0, v[46:47]
	v_fma_f64 v[20:21], v[28:29], s[16:17], v[20:21]
	v_fma_f64 v[24:25], v[70:71], s[20:21], v[24:25]
	;; [unrolled: 1-line block ×3, first 2 shown]
	v_add_f64 v[56:57], v[74:75], v[56:57]
	v_fma_f64 v[114:115], v[80:81], s[20:21], v[114:115]
	v_fma_f64 v[26:27], v[62:63], s[28:29], v[26:27]
	v_fma_f64 v[64:65], v[64:65], -2.0, v[52:53]
	v_fma_f64 v[66:67], v[66:67], 2.0, v[54:55]
	v_fma_f64 v[20:21], v[60:61], s[0:1], v[20:21]
	v_fma_f64 v[22:23], v[62:63], s[0:1], v[22:23]
	v_fma_f64 v[74:75], v[74:75], -2.0, v[56:57]
	v_fma_f64 v[114:115], v[96:97], -0.5, v[114:115]
	v_fma_f64 v[118:119], v[72:73], s[18:19], v[26:27]
	ds_write_b128 v255, v[84:87] offset:4080
	ds_write_b128 v255, v[88:91] offset:4896
	;; [unrolled: 1-line block ×13, first 2 shown]
	v_mov_b32_e32 v4, s3
	v_fma_f64 v[98:99], v[30:31], s[18:19], v[20:21]
	v_fma_f64 v[20:21], v[68:69], s[24:25], v[0:1]
	;; [unrolled: 1-line block ×3, first 2 shown]
	v_fma_f64 v[22:23], v[96:97], -0.5, v[24:25]
	v_add_f64 v[24:25], v[94:95], v[108:109]
	v_fma_f64 v[26:27], v[70:71], s[22:23], v[114:115]
	s_movk_i32 s3, 0x1ba0
	v_fma_f64 v[20:21], v[92:93], s[20:21], v[20:21]
	v_fma_f64 v[22:23], v[106:107], s[22:23], v[22:23]
	v_add_f64 v[42:43], v[42:43], v[24:25]
	v_add_f64 v[24:25], v[96:97], v[110:111]
	v_fma_f64 v[20:21], v[94:95], -0.5, v[20:21]
	v_add_f64 v[22:23], v[22:23], -v[98:99]
	v_add_f64 v[32:33], v[32:33], v[42:43]
	v_add_f64 v[40:41], v[40:41], v[24:25]
	v_mul_f64 v[24:25], v[30:31], s[30:31]
	v_add_f64 v[42:43], v[104:105], v[108:109]
	v_fma_f64 v[20:21], v[104:105], s[22:23], v[20:21]
	v_add_f64 v[34:35], v[34:35], v[40:41]
	v_fma_f64 v[24:25], v[78:79], s[16:17], v[24:25]
	v_add_f64 v[40:41], v[30:31], v[78:79]
	v_mul_f64 v[30:31], v[30:31], s[16:17]
	v_add_f64 v[20:21], v[102:103], v[20:21]
	v_fma_f64 v[24:25], v[60:61], s[28:29], v[24:25]
	v_fma_f64 v[116:117], v[28:29], s[18:19], v[24:25]
	;; [unrolled: 1-line block ×3, first 2 shown]
	v_add_f64 v[112:113], v[40:41], -v[28:29]
	v_fma_f64 v[40:41], v[28:29], s[30:31], -v[30:31]
	v_add_f64 v[28:29], v[0:1], v[32:33]
	v_add_f64 v[30:31], v[2:3], v[34:35]
	v_fma_f64 v[32:33], v[92:93], s[24:25], v[0:1]
	v_fma_f64 v[34:35], v[70:71], s[24:25], v[2:3]
	v_mul_f64 v[70:71], v[100:101], s[16:17]
	v_add_f64 v[0:1], v[0:1], v[94:95]
	v_add_f64 v[2:3], v[2:3], v[96:97]
	v_fma_f64 v[40:41], v[60:61], s[0:1], v[40:41]
	v_add_f64 v[60:61], v[106:107], v[110:111]
	v_add_f64 v[24:25], v[118:119], v[24:25]
	v_fma_f64 v[32:33], v[104:105], s[20:21], v[32:33]
	v_fma_f64 v[34:35], v[106:107], s[20:21], v[34:35]
	v_fma_f64 v[70:71], v[72:73], s[30:31], -v[70:71]
	v_fma_f64 v[42:43], v[42:43], -0.5, v[0:1]
	v_add_f64 v[26:27], v[26:27], -v[116:117]
	v_fma_f64 v[0:1], v[102:103], -2.0, v[20:21]
	v_fma_f64 v[60:61], v[60:61], -0.5, v[2:3]
	v_fma_f64 v[2:3], v[98:99], 2.0, v[22:23]
	v_fma_f64 v[32:33], v[94:95], -0.5, v[32:33]
	v_fma_f64 v[34:35], v[96:97], -0.5, v[34:35]
	v_fma_f64 v[62:63], v[62:63], s[0:1], v[70:71]
	v_add_f64 v[70:71], v[100:101], v[82:83]
	s_movk_i32 s16, 0x1000
	v_add_f64 v[70:71], v[70:71], -v[72:73]
	v_fma_f64 v[72:73], v[78:79], s[18:19], v[40:41]
	v_fma_f64 v[78:79], v[82:83], s[18:19], v[62:63]
	;; [unrolled: 1-line block ×4, first 2 shown]
	v_fma_f64 v[32:33], v[118:119], -2.0, v[24:25]
	v_fma_f64 v[34:35], v[116:117], 2.0, v[26:27]
	v_fma_f64 v[40:41], v[70:71], s[0:1], v[42:43]
	v_fma_f64 v[42:43], v[112:113], s[28:29], v[60:61]
	v_add_f64 v[60:61], v[78:79], v[62:63]
	v_add_f64 v[62:63], v[68:69], -v[72:73]
	v_mul_f64 v[68:69], v[70:71], s[0:1]
	v_mul_f64 v[70:71], v[112:113], s[0:1]
	v_fma_f64 v[78:79], v[78:79], -2.0, v[60:61]
	v_fma_f64 v[80:81], v[72:73], 2.0, v[62:63]
	v_fma_f64 v[68:69], v[68:69], -2.0, v[40:41]
	v_fma_f64 v[70:71], v[70:71], 2.0, v[42:43]
	ds_write_b128 v254, v[28:31] offset:14688
	ds_write_b128 v254, v[20:23] offset:15504
	;; [unrolled: 1-line block ×9, first 2 shown]
	v_lshlrev_b32_e32 v0, 5, v212
	v_add_co_u32_e64 v2, s[0:1], s2, v0
	v_addc_co_u32_e64 v3, s[0:1], 0, v4, s[0:1]
	v_add_co_u32_e64 v0, s[0:1], s3, v2
	v_addc_co_u32_e64 v1, s[0:1], 0, v3, s[0:1]
	;; [unrolled: 2-line block ×3, first 2 shown]
	s_waitcnt lgkmcnt(0)
	; wave barrier
	s_waitcnt lgkmcnt(0)
	global_load_dwordx4 v[66:69], v[2:3], off offset:2976
	global_load_dwordx4 v[62:65], v[0:1], off offset:16
	v_lshlrev_b32_e32 v0, 5, v128
	v_add_co_u32_e64 v2, s[0:1], s2, v0
	v_addc_co_u32_e64 v3, s[0:1], 0, v4, s[0:1]
	v_add_co_u32_e64 v0, s[0:1], s3, v2
	v_addc_co_u32_e64 v1, s[0:1], 0, v3, s[0:1]
	v_add_co_u32_e64 v2, s[0:1], s16, v2
	v_addc_co_u32_e64 v3, s[0:1], 0, v3, s[0:1]
	global_load_dwordx4 v[74:77], v[2:3], off offset:2976
	global_load_dwordx4 v[70:73], v[0:1], off offset:16
	v_lshlrev_b32_e32 v0, 5, v134
	v_add_co_u32_e64 v2, s[0:1], s2, v0
	v_addc_co_u32_e64 v3, s[0:1], 0, v4, s[0:1]
	v_add_co_u32_e64 v0, s[0:1], s3, v2
	v_addc_co_u32_e64 v1, s[0:1], 0, v3, s[0:1]
	v_add_co_u32_e64 v2, s[0:1], s16, v2
	v_addc_co_u32_e64 v3, s[0:1], 0, v3, s[0:1]
	;; [unrolled: 9-line block ×4, first 2 shown]
	v_lshlrev_b32_e32 v0, 5, v131
	v_add_co_u32_e64 v0, s[0:1], s2, v0
	v_addc_co_u32_e64 v1, s[0:1], 0, v4, s[0:1]
	v_add_co_u32_e64 v16, s[0:1], s16, v0
	v_addc_co_u32_e64 v17, s[0:1], 0, v1, s[0:1]
	global_load_dwordx4 v[5:8], v[8:9], off offset:2976
	s_nop 0
	global_load_dwordx4 v[9:12], v[12:13], off offset:16
	s_nop 0
	global_load_dwordx4 v[13:16], v[16:17], off offset:2976
	ds_read_b128 v[20:23], v255 offset:7344
	ds_read_b128 v[24:27], v255 offset:14688
	;; [unrolled: 1-line block ×8, first 2 shown]
	s_waitcnt vmcnt(10) lgkmcnt(7)
	v_mul_f64 v[52:53], v[22:23], v[68:69]
	v_mul_f64 v[54:55], v[20:21], v[68:69]
	s_waitcnt vmcnt(9) lgkmcnt(6)
	v_mul_f64 v[56:57], v[26:27], v[64:65]
	v_mul_f64 v[58:59], v[24:25], v[64:65]
	v_fma_f64 v[52:53], v[20:21], v[66:67], -v[52:53]
	buffer_store_dword v66, off, s[64:67], 0 offset:892 ; 4-byte Folded Spill
	s_nop 0
	buffer_store_dword v67, off, s[64:67], 0 offset:896 ; 4-byte Folded Spill
	buffer_store_dword v68, off, s[64:67], 0 offset:900 ; 4-byte Folded Spill
	;; [unrolled: 1-line block ×3, first 2 shown]
	v_fma_f64 v[56:57], v[24:25], v[62:63], -v[56:57]
	buffer_store_dword v62, off, s[64:67], 0 offset:876 ; 4-byte Folded Spill
	s_nop 0
	buffer_store_dword v63, off, s[64:67], 0 offset:880 ; 4-byte Folded Spill
	buffer_store_dword v64, off, s[64:67], 0 offset:884 ; 4-byte Folded Spill
	;; [unrolled: 1-line block ×3, first 2 shown]
	s_waitcnt vmcnt(16) lgkmcnt(5)
	v_mul_f64 v[20:21], v[30:31], v[76:77]
	s_waitcnt vmcnt(15) lgkmcnt(4)
	v_mul_f64 v[60:61], v[34:35], v[72:73]
	v_mul_f64 v[24:25], v[32:33], v[72:73]
	v_fma_f64 v[64:65], v[28:29], v[74:75], -v[20:21]
	v_fma_f64 v[60:61], v[32:33], v[70:71], -v[60:61]
	v_fma_f64 v[54:55], v[22:23], v[66:67], v[54:55]
	v_mul_f64 v[22:23], v[28:29], v[76:77]
	buffer_store_dword v74, off, s[64:67], 0 offset:924 ; 4-byte Folded Spill
	s_nop 0
	buffer_store_dword v75, off, s[64:67], 0 offset:928 ; 4-byte Folded Spill
	buffer_store_dword v76, off, s[64:67], 0 offset:932 ; 4-byte Folded Spill
	buffer_store_dword v77, off, s[64:67], 0 offset:936 ; 4-byte Folded Spill
	buffer_store_dword v70, off, s[64:67], 0 offset:908 ; 4-byte Folded Spill
	s_nop 0
	buffer_store_dword v71, off, s[64:67], 0 offset:912 ; 4-byte Folded Spill
	buffer_store_dword v72, off, s[64:67], 0 offset:916 ; 4-byte Folded Spill
	;; [unrolled: 1-line block ×3, first 2 shown]
	v_fma_f64 v[58:59], v[26:27], v[62:63], v[58:59]
	s_waitcnt vmcnt(22) lgkmcnt(3)
	v_mul_f64 v[26:27], v[38:39], v[84:85]
	s_waitcnt vmcnt(21) lgkmcnt(2)
	v_mul_f64 v[28:29], v[42:43], v[80:81]
	v_mul_f64 v[62:63], v[36:37], v[84:85]
	v_fma_f64 v[72:73], v[40:41], v[78:79], -v[28:29]
	s_waitcnt vmcnt(19) lgkmcnt(0)
	v_mul_f64 v[28:29], v[50:51], v[88:89]
	v_fma_f64 v[66:67], v[30:31], v[74:75], v[22:23]
	v_fma_f64 v[68:69], v[34:35], v[70:71], v[24:25]
	v_mul_f64 v[24:25], v[46:47], v[92:93]
	v_fma_f64 v[70:71], v[36:37], v[82:83], -v[26:27]
	buffer_store_dword v82, off, s[64:67], 0 offset:956 ; 4-byte Folded Spill
	s_nop 0
	buffer_store_dword v83, off, s[64:67], 0 offset:960 ; 4-byte Folded Spill
	buffer_store_dword v84, off, s[64:67], 0 offset:964 ; 4-byte Folded Spill
	buffer_store_dword v85, off, s[64:67], 0 offset:968 ; 4-byte Folded Spill
	v_mul_f64 v[30:31], v[40:41], v[80:81]
	ds_read_b128 v[20:23], v255 offset:10608
	buffer_store_dword v78, off, s[64:67], 0 offset:940 ; 4-byte Folded Spill
	s_nop 0
	buffer_store_dword v79, off, s[64:67], 0 offset:944 ; 4-byte Folded Spill
	buffer_store_dword v80, off, s[64:67], 0 offset:948 ; 4-byte Folded Spill
	;; [unrolled: 1-line block ×3, first 2 shown]
	v_mul_f64 v[26:27], v[44:45], v[92:93]
	v_fma_f64 v[80:81], v[48:49], v[86:87], -v[28:29]
	v_fma_f64 v[76:77], v[44:45], v[90:91], -v[24:25]
	buffer_store_dword v90, off, s[64:67], 0 offset:988 ; 4-byte Folded Spill
	s_nop 0
	buffer_store_dword v91, off, s[64:67], 0 offset:992 ; 4-byte Folded Spill
	buffer_store_dword v92, off, s[64:67], 0 offset:996 ; 4-byte Folded Spill
	;; [unrolled: 1-line block ×3, first 2 shown]
	s_waitcnt vmcnt(30) lgkmcnt(0)
	v_mul_f64 v[32:33], v[22:23], v[7:8]
	v_mul_f64 v[34:35], v[20:21], v[7:8]
	v_fma_f64 v[84:85], v[20:21], v[5:6], -v[32:33]
	v_fma_f64 v[62:63], v[38:39], v[82:83], v[62:63]
	v_fma_f64 v[74:75], v[42:43], v[78:79], v[30:31]
	v_mul_f64 v[30:31], v[48:49], v[88:89]
	buffer_store_dword v86, off, s[64:67], 0 offset:972 ; 4-byte Folded Spill
	s_nop 0
	buffer_store_dword v87, off, s[64:67], 0 offset:976 ; 4-byte Folded Spill
	buffer_store_dword v88, off, s[64:67], 0 offset:980 ; 4-byte Folded Spill
	;; [unrolled: 1-line block ×3, first 2 shown]
	v_fma_f64 v[78:79], v[46:47], v[90:91], v[26:27]
	ds_read_b128 v[24:27], v255 offset:17952
	buffer_store_dword v5, off, s[64:67], 0 offset:1004 ; 4-byte Folded Spill
	s_nop 0
	buffer_store_dword v6, off, s[64:67], 0 offset:1008 ; 4-byte Folded Spill
	buffer_store_dword v7, off, s[64:67], 0 offset:1012 ; 4-byte Folded Spill
	buffer_store_dword v8, off, s[64:67], 0 offset:1016 ; 4-byte Folded Spill
	s_waitcnt vmcnt(37) lgkmcnt(0)
	v_mul_f64 v[20:21], v[26:27], v[11:12]
	v_fma_f64 v[140:141], v[24:25], v[9:10], -v[20:21]
	v_fma_f64 v[82:83], v[50:51], v[86:87], v[30:31]
	v_fma_f64 v[86:87], v[22:23], v[5:6], v[34:35]
	v_mul_f64 v[22:23], v[24:25], v[11:12]
	buffer_store_dword v9, off, s[64:67], 0 offset:1020 ; 4-byte Folded Spill
	s_nop 0
	buffer_store_dword v10, off, s[64:67], 0 offset:1024 ; 4-byte Folded Spill
	buffer_store_dword v11, off, s[64:67], 0 offset:1028 ; 4-byte Folded Spill
	;; [unrolled: 1-line block ×3, first 2 shown]
	v_fma_f64 v[136:137], v[26:27], v[9:10], v[22:23]
	ds_read_b128 v[20:23], v255 offset:11424
	s_waitcnt vmcnt(40) lgkmcnt(0)
	v_mul_f64 v[24:25], v[22:23], v[15:16]
	v_fma_f64 v[152:153], v[20:21], v[13:14], -v[24:25]
	v_mul_f64 v[20:21], v[20:21], v[15:16]
	buffer_store_dword v13, off, s[64:67], 0 offset:1036 ; 4-byte Folded Spill
	s_nop 0
	buffer_store_dword v14, off, s[64:67], 0 offset:1040 ; 4-byte Folded Spill
	buffer_store_dword v15, off, s[64:67], 0 offset:1044 ; 4-byte Folded Spill
	buffer_store_dword v16, off, s[64:67], 0 offset:1048 ; 4-byte Folded Spill
	ds_read_b128 v[24:27], v255 offset:18768
	v_fma_f64 v[148:149], v[22:23], v[13:14], v[20:21]
	v_add_co_u32_e64 v20, s[0:1], s3, v0
	v_addc_co_u32_e64 v21, s[0:1], 0, v1, s[0:1]
	global_load_dwordx4 v[0:3], v[20:21], off offset:16
	s_waitcnt vmcnt(0) lgkmcnt(0)
	v_mul_f64 v[28:29], v[26:27], v[2:3]
	v_fma_f64 v[154:155], v[24:25], v[0:1], -v[28:29]
	v_mul_f64 v[24:25], v[24:25], v[2:3]
	buffer_store_dword v0, off, s[64:67], 0 offset:1052 ; 4-byte Folded Spill
	s_nop 0
	buffer_store_dword v1, off, s[64:67], 0 offset:1056 ; 4-byte Folded Spill
	buffer_store_dword v2, off, s[64:67], 0 offset:1060 ; 4-byte Folded Spill
	buffer_store_dword v3, off, s[64:67], 0 offset:1064 ; 4-byte Folded Spill
	ds_read_b128 v[28:31], v255 offset:12240
	v_fma_f64 v[150:151], v[26:27], v[0:1], v[24:25]
	v_lshlrev_b32_e32 v0, 5, v130
	v_add_co_u32_e64 v0, s[0:1], s2, v0
	v_addc_co_u32_e64 v1, s[0:1], 0, v4, s[0:1]
	v_add_co_u32_e64 v24, s[0:1], s16, v0
	v_addc_co_u32_e64 v25, s[0:1], 0, v1, s[0:1]
	global_load_dwordx4 v[5:8], v[24:25], off offset:2976
	s_waitcnt vmcnt(0) lgkmcnt(0)
	v_mul_f64 v[32:33], v[30:31], v[7:8]
	v_fma_f64 v[156:157], v[28:29], v[5:6], -v[32:33]
	v_mul_f64 v[28:29], v[28:29], v[7:8]
	buffer_store_dword v5, off, s[64:67], 0 offset:1068 ; 4-byte Folded Spill
	s_nop 0
	buffer_store_dword v6, off, s[64:67], 0 offset:1072 ; 4-byte Folded Spill
	buffer_store_dword v7, off, s[64:67], 0 offset:1076 ; 4-byte Folded Spill
	buffer_store_dword v8, off, s[64:67], 0 offset:1080 ; 4-byte Folded Spill
	ds_read_b128 v[32:35], v255 offset:19584
	v_fma_f64 v[158:159], v[30:31], v[5:6], v[28:29]
	v_add_co_u32_e64 v28, s[0:1], s3, v0
	v_addc_co_u32_e64 v29, s[0:1], 0, v1, s[0:1]
	global_load_dwordx4 v[0:3], v[28:29], off offset:16
	s_waitcnt vmcnt(0) lgkmcnt(0)
	v_mul_f64 v[36:37], v[34:35], v[2:3]
	v_fma_f64 v[160:161], v[32:33], v[0:1], -v[36:37]
	v_mul_f64 v[32:33], v[32:33], v[2:3]
	buffer_store_dword v0, off, s[64:67], 0 offset:1084 ; 4-byte Folded Spill
	s_nop 0
	buffer_store_dword v1, off, s[64:67], 0 offset:1088 ; 4-byte Folded Spill
	buffer_store_dword v2, off, s[64:67], 0 offset:1092 ; 4-byte Folded Spill
	buffer_store_dword v3, off, s[64:67], 0 offset:1096 ; 4-byte Folded Spill
	ds_read_b128 v[36:39], v255 offset:13056
	v_fma_f64 v[162:163], v[34:35], v[0:1], v[32:33]
	v_lshlrev_b32_e32 v0, 5, v129
	v_add_co_u32_e64 v0, s[0:1], s2, v0
	v_addc_co_u32_e64 v1, s[0:1], 0, v4, s[0:1]
	v_add_co_u32_e64 v32, s[0:1], s16, v0
	v_addc_co_u32_e64 v33, s[0:1], 0, v1, s[0:1]
	global_load_dwordx4 v[5:8], v[32:33], off offset:2976
	;; [unrolled: 31-line block ×3, first 2 shown]
	s_waitcnt vmcnt(0) lgkmcnt(0)
	v_mul_f64 v[48:49], v[46:47], v[42:43]
	v_fma_f64 v[204:205], v[44:45], v[40:41], -v[48:49]
	v_mul_f64 v[44:45], v[44:45], v[42:43]
	ds_read_b128 v[48:51], v255 offset:21216
	v_fma_f64 v[206:207], v[46:47], v[40:41], v[44:45]
	v_add_co_u32_e64 v44, s[0:1], s3, v0
	v_addc_co_u32_e64 v45, s[0:1], 0, v1, s[0:1]
	global_load_dwordx4 v[44:47], v[44:45], off offset:16
	v_lshlrev_b32_e32 v0, 4, v212
	s_waitcnt vmcnt(0) lgkmcnt(0)
	v_mul_f64 v[88:89], v[50:51], v[46:47]
	v_fma_f64 v[208:209], v[48:49], v[44:45], -v[88:89]
	v_mul_f64 v[48:49], v[48:49], v[46:47]
	v_add_f64 v[88:89], v[52:53], v[56:57]
	v_fma_f64 v[210:211], v[50:51], v[44:45], v[48:49]
	ds_read_b128 v[48:51], v255
	s_waitcnt lgkmcnt(0)
	v_fma_f64 v[94:95], v[88:89], -0.5, v[48:49]
	v_add_f64 v[88:89], v[54:55], v[58:59]
	v_add_f64 v[48:49], v[48:49], v[52:53]
	v_fma_f64 v[98:99], v[88:89], -0.5, v[50:51]
	v_add_f64 v[50:51], v[50:51], v[54:55]
	v_add_f64 v[54:55], v[54:55], -v[58:59]
	v_add_f64 v[88:89], v[48:49], v[56:57]
	v_add_f64 v[48:49], v[52:53], -v[56:57]
	;; [unrolled: 2-line block ×3, first 2 shown]
	v_add_f64 v[90:91], v[50:51], v[58:59]
	v_fma_f64 v[92:93], v[54:55], s[4:5], v[94:95]
	v_fma_f64 v[96:97], v[54:55], s[12:13], v[94:95]
	;; [unrolled: 1-line block ×4, first 2 shown]
	ds_read_b128 v[48:51], v255 offset:816
	v_add_f64 v[54:55], v[66:67], v[68:69]
	s_waitcnt lgkmcnt(0)
	v_fma_f64 v[52:53], v[52:53], -0.5, v[48:49]
	v_add_f64 v[48:49], v[48:49], v[64:65]
	v_fma_f64 v[54:55], v[54:55], -0.5, v[50:51]
	v_add_f64 v[50:51], v[50:51], v[66:67]
	v_fma_f64 v[104:105], v[56:57], s[4:5], v[52:53]
	v_add_f64 v[100:101], v[48:49], v[60:61]
	v_add_f64 v[48:49], v[64:65], -v[60:61]
	v_fma_f64 v[108:109], v[56:57], s[12:13], v[52:53]
	v_add_f64 v[52:53], v[70:71], v[72:73]
	v_add_f64 v[102:103], v[50:51], v[68:69]
	v_add_f64 v[56:57], v[62:63], -v[74:75]
	v_add_f64 v[60:61], v[158:159], -v[162:163]
	;; [unrolled: 1-line block ×3, first 2 shown]
	v_add_f64 v[68:69], v[164:165], v[200:201]
	v_fma_f64 v[106:107], v[48:49], s[12:13], v[54:55]
	v_fma_f64 v[110:111], v[48:49], s[4:5], v[54:55]
	ds_read_b128 v[48:51], v255 offset:1632
	v_add_f64 v[54:55], v[62:63], v[74:75]
	s_waitcnt lgkmcnt(0)
	v_fma_f64 v[52:53], v[52:53], -0.5, v[48:49]
	v_add_f64 v[48:49], v[48:49], v[70:71]
	v_fma_f64 v[54:55], v[54:55], -0.5, v[50:51]
	v_add_f64 v[50:51], v[50:51], v[62:63]
	v_fma_f64 v[116:117], v[56:57], s[4:5], v[52:53]
	v_add_f64 v[112:113], v[48:49], v[72:73]
	v_add_f64 v[48:49], v[70:71], -v[72:73]
	v_fma_f64 v[120:121], v[56:57], s[12:13], v[52:53]
	v_add_f64 v[52:53], v[76:77], v[80:81]
	v_add_f64 v[114:115], v[50:51], v[74:75]
	v_add_f64 v[56:57], v[78:79], -v[82:83]
	v_add_f64 v[72:73], v[166:167], -v[202:203]
	v_fma_f64 v[118:119], v[48:49], s[12:13], v[54:55]
	v_fma_f64 v[122:123], v[48:49], s[4:5], v[54:55]
	ds_read_b128 v[48:51], v255 offset:2448
	v_add_f64 v[54:55], v[78:79], v[82:83]
	s_waitcnt lgkmcnt(0)
	v_fma_f64 v[52:53], v[52:53], -0.5, v[48:49]
	v_add_f64 v[48:49], v[48:49], v[76:77]
	v_fma_f64 v[54:55], v[54:55], -0.5, v[50:51]
	v_add_f64 v[50:51], v[50:51], v[78:79]
	v_fma_f64 v[128:129], v[56:57], s[4:5], v[52:53]
	v_add_f64 v[124:125], v[48:49], v[80:81]
	v_add_f64 v[48:49], v[76:77], -v[80:81]
	v_fma_f64 v[132:133], v[56:57], s[12:13], v[52:53]
	v_add_f64 v[52:53], v[84:85], v[140:141]
	v_add_f64 v[126:127], v[50:51], v[82:83]
	v_add_f64 v[56:57], v[86:87], -v[136:137]
	v_add_f64 v[76:77], v[164:165], -v[200:201]
	v_add_f64 v[80:81], v[204:205], v[208:209]
	v_fma_f64 v[130:131], v[48:49], s[12:13], v[54:55]
	v_fma_f64 v[134:135], v[48:49], s[4:5], v[54:55]
	v_add_f64 v[54:55], v[86:87], v[136:137]
	ds_read_b128 v[48:51], v255 offset:3264
	s_waitcnt lgkmcnt(0)
	v_fma_f64 v[52:53], v[52:53], -0.5, v[48:49]
	v_add_f64 v[48:49], v[48:49], v[84:85]
	v_fma_f64 v[54:55], v[54:55], -0.5, v[50:51]
	v_add_f64 v[50:51], v[50:51], v[86:87]
	v_fma_f64 v[144:145], v[56:57], s[12:13], v[52:53]
	v_add_f64 v[138:139], v[50:51], v[136:137]
	v_add_f64 v[136:137], v[48:49], v[140:141]
	v_add_f64 v[48:49], v[84:85], -v[140:141]
	v_fma_f64 v[140:141], v[56:57], s[4:5], v[52:53]
	v_add_f64 v[52:53], v[152:153], v[154:155]
	v_add_f64 v[56:57], v[148:149], -v[150:151]
	v_add_f64 v[84:85], v[206:207], -v[210:211]
	v_fma_f64 v[142:143], v[48:49], s[12:13], v[54:55]
	v_fma_f64 v[146:147], v[48:49], s[4:5], v[54:55]
	v_add_f64 v[54:55], v[148:149], v[150:151]
	ds_read_b128 v[48:51], v255 offset:4080
	s_waitcnt lgkmcnt(0)
	v_fma_f64 v[52:53], v[52:53], -0.5, v[48:49]
	v_add_f64 v[48:49], v[48:49], v[152:153]
	v_fma_f64 v[54:55], v[54:55], -0.5, v[50:51]
	v_add_f64 v[50:51], v[50:51], v[148:149]
	v_add_f64 v[148:149], v[48:49], v[154:155]
	v_fma_f64 v[48:49], v[56:57], s[12:13], v[52:53]
	v_add_f64 v[150:151], v[50:51], v[150:151]
	v_add_f64 v[50:51], v[152:153], -v[154:155]
	v_fma_f64 v[152:153], v[56:57], s[4:5], v[52:53]
	v_add_f64 v[56:57], v[156:157], v[160:161]
	v_fma_f64 v[154:155], v[50:51], s[12:13], v[54:55]
	v_fma_f64 v[50:51], v[50:51], s[4:5], v[54:55]
	ds_read_b128 v[52:55], v255 offset:4896
	s_waitcnt lgkmcnt(0)
	v_fma_f64 v[58:59], v[56:57], -0.5, v[52:53]
	v_add_f64 v[56:57], v[158:159], v[162:163]
	v_add_f64 v[52:53], v[52:53], v[156:157]
	v_add_f64 v[156:157], v[204:205], -v[208:209]
	v_fma_f64 v[4:5], v[60:61], s[12:13], v[58:59]
	v_fma_f64 v[62:63], v[56:57], -0.5, v[54:55]
	v_fma_f64 v[56:57], v[60:61], s[4:5], v[58:59]
	v_add_f64 v[54:55], v[54:55], v[158:159]
	v_add_f64 v[52:53], v[52:53], v[160:161]
	v_fma_f64 v[58:59], v[64:65], s[12:13], v[62:63]
	v_fma_f64 v[6:7], v[64:65], s[4:5], v[62:63]
	ds_read_b128 v[64:67], v255 offset:5712
	v_add_f64 v[54:55], v[54:55], v[162:163]
	s_waitcnt lgkmcnt(0)
	v_fma_f64 v[70:71], v[68:69], -0.5, v[64:65]
	v_add_f64 v[68:69], v[166:167], v[202:203]
	v_add_f64 v[64:65], v[64:65], v[164:165]
	v_fma_f64 v[12:13], v[72:73], s[4:5], v[70:71]
	v_fma_f64 v[74:75], v[68:69], -0.5, v[66:67]
	v_add_f64 v[66:67], v[66:67], v[166:167]
	v_add_f64 v[8:9], v[64:65], v[200:201]
	v_fma_f64 v[16:17], v[72:73], s[12:13], v[70:71]
	v_fma_f64 v[14:15], v[76:77], s[12:13], v[74:75]
	v_fma_f64 v[18:19], v[76:77], s[4:5], v[74:75]
	ds_read_b128 v[76:79], v255 offset:6528
	v_add_f64 v[10:11], v[66:67], v[202:203]
	ds_write_b128 v255, v[88:91]
	ds_write_b128 v255, v[92:95] offset:7344
	ds_write_b128 v255, v[96:99] offset:14688
	;; [unrolled: 1-line block ×16, first 2 shown]
	v_add_co_u32_e64 v110, s[0:1], s14, v0
	s_waitcnt lgkmcnt(14)
	v_fma_f64 v[82:83], v[80:81], -0.5, v[76:77]
	v_add_f64 v[80:81], v[206:207], v[210:211]
	v_add_f64 v[76:77], v[76:77], v[204:205]
	v_mov_b32_e32 v0, s15
	v_addc_co_u32_e64 v111, s[0:1], 0, v0, s[0:1]
	v_fma_f64 v[24:25], v[84:85], s[4:5], v[82:83]
	v_fma_f64 v[86:87], v[80:81], -0.5, v[78:79]
	v_add_f64 v[78:79], v[78:79], v[206:207]
	v_add_f64 v[20:21], v[76:77], v[208:209]
	v_fma_f64 v[28:29], v[84:85], s[12:13], v[82:83]
	v_fma_f64 v[30:31], v[156:157], s[4:5], v[86:87]
	s_movk_i32 s4, 0x5000
	v_add_co_u32_e64 v88, s[0:1], s4, v110
	v_add_f64 v[22:23], v[78:79], v[210:211]
	v_addc_co_u32_e64 v89, s[0:1], 0, v111, s[0:1]
	v_fma_f64 v[26:27], v[156:157], s[12:13], v[86:87]
	ds_write_b128 v255, v[48:51] offset:18768
	ds_write_b128 v255, v[52:55] offset:4896
	;; [unrolled: 1-line block ×10, first 2 shown]
	s_waitcnt lgkmcnt(0)
	; wave barrier
	s_waitcnt lgkmcnt(0)
	global_load_dwordx4 v[90:93], v[88:89], off offset:1552
	ds_read_b128 v[94:97], v255
	ds_read_b128 v[98:101], v255 offset:1296
	s_movk_i32 s0, 0x5610
	v_add_co_u32_e64 v108, s[0:1], s0, v110
	v_addc_co_u32_e64 v109, s[0:1], 0, v111, s[0:1]
	ds_read_b128 v[102:105], v255 offset:2592
	ds_read_b128 v[112:115], v255 offset:3888
	s_movk_i32 s0, 0x6000
	v_add_co_u32_e64 v116, s[0:1], s0, v110
	v_addc_co_u32_e64 v117, s[0:1], 0, v111, s[0:1]
	s_movk_i32 s0, 0x7000
	ds_read_b128 v[158:161], v255 offset:15552
	ds_read_b128 v[164:167], v255 offset:16848
	;; [unrolled: 1-line block ×8, first 2 shown]
	s_waitcnt vmcnt(0) lgkmcnt(11)
	v_mul_f64 v[88:89], v[96:97], v[92:93]
	v_mul_f64 v[92:93], v[94:95], v[92:93]
	v_fma_f64 v[88:89], v[94:95], v[90:91], -v[88:89]
	v_fma_f64 v[90:91], v[96:97], v[90:91], v[92:93]
	global_load_dwordx4 v[94:97], v[108:109], off offset:1296
	s_waitcnt vmcnt(0) lgkmcnt(10)
	v_mul_f64 v[92:93], v[100:101], v[96:97]
	v_mul_f64 v[96:97], v[98:99], v[96:97]
	v_fma_f64 v[92:93], v[98:99], v[94:95], -v[92:93]
	v_fma_f64 v[94:95], v[100:101], v[94:95], v[96:97]
	global_load_dwordx4 v[98:101], v[108:109], off offset:2592
	;; [unrolled: 6-line block ×4, first 2 shown]
	ds_read_b128 v[104:107], v255 offset:5184
	s_waitcnt vmcnt(0) lgkmcnt(0)
	v_mul_f64 v[118:119], v[106:107], v[114:115]
	v_mul_f64 v[114:115], v[104:105], v[114:115]
	v_fma_f64 v[104:105], v[104:105], v[112:113], -v[118:119]
	v_fma_f64 v[106:107], v[106:107], v[112:113], v[114:115]
	global_load_dwordx4 v[112:115], v[116:117], off offset:3936
	ds_read_b128 v[116:119], v255 offset:6480
	s_waitcnt vmcnt(0) lgkmcnt(0)
	v_mul_f64 v[120:121], v[118:119], v[114:115]
	v_mul_f64 v[122:123], v[116:117], v[114:115]
	v_fma_f64 v[114:115], v[116:117], v[112:113], -v[120:121]
	v_fma_f64 v[116:117], v[118:119], v[112:113], v[122:123]
	v_add_co_u32_e64 v112, s[0:1], s0, v110
	v_addc_co_u32_e64 v113, s[0:1], 0, v111, s[0:1]
	global_load_dwordx4 v[118:121], v[112:113], off offset:1136
	ds_read_b128 v[122:125], v255 offset:7776
	s_mov_b32 s0, 0x8000
	s_waitcnt vmcnt(0) lgkmcnt(0)
	v_mul_f64 v[126:127], v[124:125], v[120:121]
	v_mul_f64 v[128:129], v[122:123], v[120:121]
	v_fma_f64 v[120:121], v[122:123], v[118:119], -v[126:127]
	v_fma_f64 v[122:123], v[124:125], v[118:119], v[128:129]
	global_load_dwordx4 v[124:127], v[112:113], off offset:2432
	ds_read_b128 v[128:131], v255 offset:9072
	s_waitcnt vmcnt(0) lgkmcnt(0)
	v_mul_f64 v[118:119], v[130:131], v[126:127]
	v_mul_f64 v[132:133], v[128:129], v[126:127]
	v_fma_f64 v[126:127], v[128:129], v[124:125], -v[118:119]
	v_fma_f64 v[128:129], v[130:131], v[124:125], v[132:133]
	global_load_dwordx4 v[130:133], v[112:113], off offset:3728
	s_waitcnt vmcnt(0)
	v_mul_f64 v[112:113], v[136:137], v[132:133]
	v_mul_f64 v[118:119], v[134:135], v[132:133]
	v_fma_f64 v[132:133], v[134:135], v[130:131], -v[112:113]
	v_add_co_u32_e64 v112, s[0:1], s0, v110
	v_addc_co_u32_e64 v113, s[0:1], 0, v111, s[0:1]
	v_fma_f64 v[134:135], v[136:137], v[130:131], v[118:119]
	global_load_dwordx4 v[136:139], v[112:113], off offset:928
	s_mov_b32 s0, 0x9000
	s_waitcnt vmcnt(0)
	v_mul_f64 v[118:119], v[142:143], v[138:139]
	v_mul_f64 v[124:125], v[140:141], v[138:139]
	v_fma_f64 v[138:139], v[140:141], v[136:137], -v[118:119]
	v_fma_f64 v[140:141], v[142:143], v[136:137], v[124:125]
	global_load_dwordx4 v[142:145], v[112:113], off offset:2224
	s_waitcnt vmcnt(0)
	v_mul_f64 v[118:119], v[148:149], v[144:145]
	v_mul_f64 v[124:125], v[146:147], v[144:145]
	v_fma_f64 v[144:145], v[146:147], v[142:143], -v[118:119]
	v_fma_f64 v[146:147], v[148:149], v[142:143], v[124:125]
	global_load_dwordx4 v[148:151], v[112:113], off offset:3520
	s_waitcnt vmcnt(0)
	v_mul_f64 v[112:113], v[154:155], v[150:151]
	v_mul_f64 v[118:119], v[152:153], v[150:151]
	v_fma_f64 v[150:151], v[152:153], v[148:149], -v[112:113]
	v_add_co_u32_e64 v112, s[0:1], s0, v110
	v_addc_co_u32_e64 v113, s[0:1], 0, v111, s[0:1]
	v_fma_f64 v[152:153], v[154:155], v[148:149], v[118:119]
	global_load_dwordx4 v[154:157], v[112:113], off offset:720
	global_load_dwordx4 v[200:203], v[112:113], off offset:3312
	s_mov_b32 s0, 0xa000
	s_waitcnt vmcnt(1)
	v_mul_f64 v[118:119], v[160:161], v[156:157]
	v_mul_f64 v[124:125], v[158:159], v[156:157]
	v_fma_f64 v[156:157], v[158:159], v[154:155], -v[118:119]
	v_fma_f64 v[158:159], v[160:161], v[154:155], v[124:125]
	global_load_dwordx4 v[160:163], v[112:113], off offset:2016
	s_waitcnt vmcnt(1)
	v_mul_f64 v[112:113], v[206:207], v[202:203]
	s_waitcnt vmcnt(0)
	v_mul_f64 v[118:119], v[166:167], v[162:163]
	v_mul_f64 v[124:125], v[164:165], v[162:163]
	v_fma_f64 v[162:163], v[164:165], v[160:161], -v[118:119]
	v_mul_f64 v[118:119], v[204:205], v[202:203]
	v_fma_f64 v[202:203], v[204:205], v[200:201], -v[112:113]
	v_fma_f64 v[164:165], v[166:167], v[160:161], v[124:125]
	v_fma_f64 v[204:205], v[206:207], v[200:201], v[118:119]
	v_add_co_u32_e64 v118, s[0:1], s0, v110
	v_addc_co_u32_e64 v119, s[0:1], 0, v111, s[0:1]
	global_load_dwordx4 v[110:113], v[118:119], off offset:512
	ds_read_b128 v[206:209], v255 offset:19440
	s_waitcnt vmcnt(0) lgkmcnt(0)
	v_mul_f64 v[124:125], v[208:209], v[112:113]
	v_mul_f64 v[112:113], v[206:207], v[112:113]
	v_fma_f64 v[206:207], v[206:207], v[110:111], -v[124:125]
	v_fma_f64 v[208:209], v[208:209], v[110:111], v[112:113]
	global_load_dwordx4 v[110:113], v[118:119], off offset:1808
	s_waitcnt vmcnt(0)
	v_mul_f64 v[118:119], v[212:213], v[112:113]
	v_mul_f64 v[112:113], v[210:211], v[112:113]
	v_fma_f64 v[210:211], v[210:211], v[110:111], -v[118:119]
	v_fma_f64 v[212:213], v[212:213], v[110:111], v[112:113]
	ds_write_b128 v255, v[88:91]
	ds_write_b128 v255, v[92:95] offset:1296
	ds_write_b128 v255, v[96:99] offset:2592
	;; [unrolled: 1-line block ×16, first 2 shown]
	s_and_saveexec_b64 s[2:3], vcc
	s_cbranch_execz .LBB0_9
; %bb.8:
	global_load_dwordx4 v[92:95], v[108:109], off offset:816
	ds_read_b128 v[88:91], v255 offset:816
	v_add_co_u32_e64 v100, s[0:1], s16, v108
	v_addc_co_u32_e64 v101, s[0:1], 0, v109, s[0:1]
	s_movk_i32 s0, 0x2000
	s_waitcnt vmcnt(0) lgkmcnt(0)
	v_mul_f64 v[96:97], v[90:91], v[94:95]
	v_fma_f64 v[96:97], v[88:89], v[92:93], -v[96:97]
	v_mul_f64 v[88:89], v[88:89], v[94:95]
	v_fma_f64 v[98:99], v[90:91], v[92:93], v[88:89]
	global_load_dwordx4 v[92:95], v[108:109], off offset:2112
	ds_read_b128 v[88:91], v255 offset:2112
	ds_write_b128 v255, v[96:99] offset:816
	s_waitcnt vmcnt(0) lgkmcnt(1)
	v_mul_f64 v[96:97], v[90:91], v[94:95]
	v_fma_f64 v[96:97], v[88:89], v[92:93], -v[96:97]
	v_mul_f64 v[88:89], v[88:89], v[94:95]
	v_fma_f64 v[98:99], v[90:91], v[92:93], v[88:89]
	global_load_dwordx4 v[92:95], v[108:109], off offset:3408
	ds_read_b128 v[88:91], v255 offset:3408
	ds_write_b128 v255, v[96:99] offset:2112
	s_waitcnt vmcnt(0) lgkmcnt(1)
	v_mul_f64 v[96:97], v[90:91], v[94:95]
	v_fma_f64 v[96:97], v[88:89], v[92:93], -v[96:97]
	v_mul_f64 v[88:89], v[88:89], v[94:95]
	v_fma_f64 v[98:99], v[90:91], v[92:93], v[88:89]
	global_load_dwordx4 v[92:95], v[100:101], off offset:608
	ds_read_b128 v[88:91], v255 offset:4704
	ds_write_b128 v255, v[96:99] offset:3408
	s_waitcnt vmcnt(0) lgkmcnt(1)
	v_mul_f64 v[96:97], v[90:91], v[94:95]
	v_fma_f64 v[96:97], v[88:89], v[92:93], -v[96:97]
	v_mul_f64 v[88:89], v[88:89], v[94:95]
	v_fma_f64 v[98:99], v[90:91], v[92:93], v[88:89]
	global_load_dwordx4 v[92:95], v[100:101], off offset:1904
	ds_read_b128 v[88:91], v255 offset:6000
	ds_write_b128 v255, v[96:99] offset:4704
	s_waitcnt vmcnt(0) lgkmcnt(1)
	v_mul_f64 v[96:97], v[90:91], v[94:95]
	v_fma_f64 v[96:97], v[88:89], v[92:93], -v[96:97]
	v_mul_f64 v[88:89], v[88:89], v[94:95]
	v_fma_f64 v[98:99], v[90:91], v[92:93], v[88:89]
	global_load_dwordx4 v[92:95], v[100:101], off offset:3200
	ds_read_b128 v[88:91], v255 offset:7296
	v_add_co_u32_e64 v100, s[0:1], s0, v108
	v_addc_co_u32_e64 v101, s[0:1], 0, v109, s[0:1]
	s_movk_i32 s0, 0x3000
	ds_write_b128 v255, v[96:99] offset:6000
	s_waitcnt vmcnt(0) lgkmcnt(1)
	v_mul_f64 v[96:97], v[90:91], v[94:95]
	v_fma_f64 v[96:97], v[88:89], v[92:93], -v[96:97]
	v_mul_f64 v[88:89], v[88:89], v[94:95]
	v_fma_f64 v[98:99], v[90:91], v[92:93], v[88:89]
	global_load_dwordx4 v[92:95], v[100:101], off offset:400
	ds_read_b128 v[88:91], v255 offset:8592
	ds_write_b128 v255, v[96:99] offset:7296
	s_waitcnt vmcnt(0) lgkmcnt(1)
	v_mul_f64 v[96:97], v[90:91], v[94:95]
	v_fma_f64 v[96:97], v[88:89], v[92:93], -v[96:97]
	v_mul_f64 v[88:89], v[88:89], v[94:95]
	v_fma_f64 v[98:99], v[90:91], v[92:93], v[88:89]
	global_load_dwordx4 v[92:95], v[100:101], off offset:1696
	ds_read_b128 v[88:91], v255 offset:9888
	;; [unrolled: 8-line block ×3, first 2 shown]
	v_add_co_u32_e64 v100, s[0:1], s0, v108
	v_addc_co_u32_e64 v101, s[0:1], 0, v109, s[0:1]
	s_movk_i32 s0, 0x4000
	ds_write_b128 v255, v[96:99] offset:9888
	s_waitcnt vmcnt(0) lgkmcnt(1)
	v_mul_f64 v[96:97], v[90:91], v[94:95]
	v_fma_f64 v[96:97], v[88:89], v[92:93], -v[96:97]
	v_mul_f64 v[88:89], v[88:89], v[94:95]
	v_fma_f64 v[98:99], v[90:91], v[92:93], v[88:89]
	global_load_dwordx4 v[92:95], v[100:101], off offset:192
	ds_read_b128 v[88:91], v255 offset:12480
	ds_write_b128 v255, v[96:99] offset:11184
	s_waitcnt vmcnt(0) lgkmcnt(1)
	v_mul_f64 v[96:97], v[90:91], v[94:95]
	v_fma_f64 v[96:97], v[88:89], v[92:93], -v[96:97]
	v_mul_f64 v[88:89], v[88:89], v[94:95]
	v_fma_f64 v[98:99], v[90:91], v[92:93], v[88:89]
	global_load_dwordx4 v[92:95], v[100:101], off offset:1488
	ds_read_b128 v[88:91], v255 offset:13776
	;; [unrolled: 8-line block ×4, first 2 shown]
	v_add_co_u32_e64 v100, s[0:1], s0, v108
	v_addc_co_u32_e64 v101, s[0:1], 0, v109, s[0:1]
	ds_write_b128 v255, v[96:99] offset:15072
	s_waitcnt vmcnt(0) lgkmcnt(1)
	v_mul_f64 v[96:97], v[90:91], v[94:95]
	v_fma_f64 v[96:97], v[88:89], v[92:93], -v[96:97]
	v_mul_f64 v[88:89], v[88:89], v[94:95]
	v_fma_f64 v[98:99], v[90:91], v[92:93], v[88:89]
	global_load_dwordx4 v[92:95], v[100:101], off offset:1280
	ds_read_b128 v[88:91], v255 offset:17664
	ds_write_b128 v255, v[96:99] offset:16368
	s_waitcnt vmcnt(0) lgkmcnt(1)
	v_mul_f64 v[96:97], v[90:91], v[94:95]
	v_fma_f64 v[96:97], v[88:89], v[92:93], -v[96:97]
	v_mul_f64 v[88:89], v[88:89], v[94:95]
	v_fma_f64 v[98:99], v[90:91], v[92:93], v[88:89]
	global_load_dwordx4 v[92:95], v[100:101], off offset:2576
	ds_read_b128 v[88:91], v255 offset:18960
	;; [unrolled: 8-line block ×3, first 2 shown]
	ds_write_b128 v255, v[96:99] offset:18960
	s_waitcnt vmcnt(0) lgkmcnt(1)
	v_mul_f64 v[96:97], v[90:91], v[94:95]
	v_fma_f64 v[96:97], v[88:89], v[92:93], -v[96:97]
	v_mul_f64 v[88:89], v[88:89], v[94:95]
	v_fma_f64 v[98:99], v[90:91], v[92:93], v[88:89]
	v_add_co_u32_e64 v92, s[0:1], s4, v108
	v_addc_co_u32_e64 v93, s[0:1], 0, v109, s[0:1]
	global_load_dwordx4 v[92:95], v[92:93], off offset:1072
	ds_read_b128 v[88:91], v255 offset:21552
	ds_write_b128 v255, v[96:99] offset:20256
	s_waitcnt vmcnt(0) lgkmcnt(1)
	v_mul_f64 v[96:97], v[90:91], v[94:95]
	v_fma_f64 v[96:97], v[88:89], v[92:93], -v[96:97]
	v_mul_f64 v[88:89], v[88:89], v[94:95]
	v_fma_f64 v[98:99], v[90:91], v[92:93], v[88:89]
	ds_write_b128 v255, v[96:99] offset:21552
.LBB0_9:
	s_or_b64 exec, exec, s[2:3]
	s_waitcnt lgkmcnt(0)
	; wave barrier
	s_waitcnt lgkmcnt(0)
	ds_read_b128 v[144:147], v255
	ds_read_b128 v[148:151], v255 offset:1296
	ds_read_b128 v[136:139], v255 offset:2592
	ds_read_b128 v[128:131], v255 offset:3888
	ds_read_b128 v[120:123], v255 offset:5184
	ds_read_b128 v[112:115], v255 offset:6480
	ds_read_b128 v[104:107], v255 offset:7776
	ds_read_b128 v[96:99], v255 offset:9072
	ds_read_b128 v[88:91], v255 offset:10368
	ds_read_b128 v[92:95], v255 offset:11664
	ds_read_b128 v[100:103], v255 offset:12960
	ds_read_b128 v[108:111], v255 offset:14256
	ds_read_b128 v[116:119], v255 offset:15552
	ds_read_b128 v[124:127], v255 offset:16848
	ds_read_b128 v[132:135], v255 offset:18144
	ds_read_b128 v[140:143], v255 offset:19440
	ds_read_b128 v[152:155], v255 offset:20736
	s_and_saveexec_b64 s[0:1], vcc
	s_cbranch_execz .LBB0_11
; %bb.10:
	ds_read_b128 v[48:51], v255 offset:816
	ds_read_b128 v[52:55], v255 offset:2112
	ds_read_b128 v[56:59], v255 offset:3408
	ds_read_b128 v[4:7], v255 offset:4704
	ds_read_b128 v[8:11], v255 offset:6000
	ds_read_b128 v[12:15], v255 offset:7296
	ds_read_b128 v[16:19], v255 offset:8592
	ds_read_b128 v[20:23], v255 offset:9888
	ds_read_b128 v[24:27], v255 offset:11184
	ds_read_b128 v[28:31], v255 offset:12480
	ds_read_b128 v[0:3], v255 offset:13776
	s_waitcnt lgkmcnt(0)
	buffer_store_dword v0, off, s[64:67], 0 offset:100 ; 4-byte Folded Spill
	s_nop 0
	buffer_store_dword v1, off, s[64:67], 0 offset:104 ; 4-byte Folded Spill
	buffer_store_dword v2, off, s[64:67], 0 offset:108 ; 4-byte Folded Spill
	buffer_store_dword v3, off, s[64:67], 0 offset:112 ; 4-byte Folded Spill
	ds_read_b128 v[0:3], v255 offset:15072
	s_waitcnt lgkmcnt(0)
	buffer_store_dword v0, off, s[64:67], 0 offset:84 ; 4-byte Folded Spill
	s_nop 0
	buffer_store_dword v1, off, s[64:67], 0 offset:88 ; 4-byte Folded Spill
	buffer_store_dword v2, off, s[64:67], 0 offset:92 ; 4-byte Folded Spill
	buffer_store_dword v3, off, s[64:67], 0 offset:96 ; 4-byte Folded Spill
	ds_read_b128 v[0:3], v255 offset:16368
	;; [unrolled: 7-line block ×6, first 2 shown]
	s_waitcnt lgkmcnt(0)
	buffer_store_dword v0, off, s[64:67], 0 offset:4 ; 4-byte Folded Spill
	s_nop 0
	buffer_store_dword v1, off, s[64:67], 0 offset:8 ; 4-byte Folded Spill
	buffer_store_dword v2, off, s[64:67], 0 offset:12 ; 4-byte Folded Spill
	;; [unrolled: 1-line block ×3, first 2 shown]
.LBB0_11:
	s_or_b64 exec, exec, s[0:1]
	s_waitcnt lgkmcnt(14)
	v_add_f64 v[156:157], v[144:145], v[148:149]
	v_add_f64 v[158:159], v[146:147], v[150:151]
	s_waitcnt lgkmcnt(0)
	v_add_f64 v[232:233], v[150:151], -v[154:155]
	s_mov_b32 s20, 0xeb564b22
	s_mov_b32 s21, 0xbfefdd0d
	v_add_f64 v[222:223], v[148:149], v[152:153]
	v_add_f64 v[230:231], v[150:151], v[154:155]
	s_mov_b32 s18, 0x3259b75e
	v_add_f64 v[156:157], v[156:157], v[136:137]
	v_add_f64 v[158:159], v[158:159], v[138:139]
	v_mul_f64 v[206:207], v[232:233], s[20:21]
	s_mov_b32 s19, 0x3fb79ee6
	v_add_f64 v[224:225], v[148:149], -v[152:153]
	s_mov_b32 s2, 0x5d8e7cdc
	v_mul_f64 v[208:209], v[230:231], s[18:19]
	s_mov_b32 s12, 0x2a9d6da3
	v_add_f64 v[156:157], v[156:157], v[128:129]
	v_add_f64 v[158:159], v[158:159], v[130:131]
	v_fma_f64 v[202:203], v[222:223], s[18:19], v[206:207]
	v_fma_f64 v[206:207], v[222:223], s[18:19], -v[206:207]
	s_mov_b32 s16, 0x7c9e640b
	s_mov_b32 s24, 0x923c349f
	;; [unrolled: 1-line block ×4, first 2 shown]
	v_add_f64 v[156:157], v[156:157], v[120:121]
	v_add_f64 v[158:159], v[158:159], v[122:123]
	s_mov_b32 s46, 0xacd6c6b4
	s_mov_b32 s3, 0xbfd71e95
	;; [unrolled: 1-line block ×6, first 2 shown]
	v_add_f64 v[156:157], v[156:157], v[112:113]
	v_add_f64 v[158:159], v[158:159], v[114:115]
	s_mov_b32 s25, 0xbfeec746
	s_mov_b32 s31, 0xbfe9895b
	;; [unrolled: 1-line block ×4, first 2 shown]
	v_mul_f64 v[150:151], v[232:233], s[2:3]
	v_mul_f64 v[160:161], v[232:233], s[12:13]
	v_add_f64 v[156:157], v[156:157], v[104:105]
	v_add_f64 v[158:159], v[158:159], v[106:107]
	v_mul_f64 v[166:167], v[232:233], s[16:17]
	v_fma_f64 v[210:211], v[224:225], s[50:51], v[208:209]
	v_add_f64 v[214:215], v[144:145], v[206:207]
	v_fma_f64 v[206:207], v[224:225], s[20:21], v[208:209]
	v_mul_f64 v[208:209], v[232:233], s[24:25]
	v_mul_f64 v[234:235], v[232:233], s[30:31]
	v_add_f64 v[156:157], v[156:157], v[96:97]
	v_add_f64 v[158:159], v[158:159], v[98:99]
	v_mul_f64 v[252:253], v[232:233], s[40:41]
	v_mul_f64 v[232:233], v[232:233], s[46:47]
	s_mov_b32 s0, 0x370991
	s_mov_b32 s4, 0x75d4884
	;; [unrolled: 1-line block ×4, first 2 shown]
	v_add_f64 v[156:157], v[156:157], v[88:89]
	v_add_f64 v[158:159], v[158:159], v[90:91]
	s_mov_b32 s26, 0x6ed5f1bb
	s_mov_b32 s36, 0x910ea3b9
	;; [unrolled: 1-line block ×6, first 2 shown]
	v_add_f64 v[156:157], v[156:157], v[92:93]
	v_add_f64 v[158:159], v[158:159], v[94:95]
	s_mov_b32 s23, 0xbfd183b1
	s_mov_b32 s27, 0xbfe348c8
	;; [unrolled: 1-line block ×4, first 2 shown]
	v_fma_f64 v[148:149], v[222:223], s[0:1], v[150:151]
	v_fma_f64 v[150:151], v[222:223], s[0:1], -v[150:151]
	v_add_f64 v[156:157], v[156:157], v[100:101]
	v_add_f64 v[158:159], v[158:159], v[102:103]
	v_mul_f64 v[162:163], v[230:231], s[4:5]
	v_fma_f64 v[164:165], v[222:223], s[14:15], v[166:167]
	v_mul_f64 v[200:201], v[230:231], s[14:15]
	v_fma_f64 v[166:167], v[222:223], s[14:15], -v[166:167]
	v_add_f64 v[212:213], v[146:147], v[210:211]
	v_add_f64 v[216:217], v[146:147], v[206:207]
	;; [unrolled: 1-line block ×4, first 2 shown]
	v_fma_f64 v[206:207], v[222:223], s[22:23], v[208:209]
	v_mul_f64 v[210:211], v[230:231], s[22:23]
	v_fma_f64 v[208:209], v[222:223], s[22:23], -v[208:209]
	v_fma_f64 v[220:221], v[222:223], s[26:27], v[234:235]
	v_mul_f64 v[236:237], v[230:231], s[26:27]
	v_fma_f64 v[234:235], v[222:223], s[26:27], -v[234:235]
	v_add_f64 v[156:157], v[156:157], v[116:117]
	v_add_f64 v[158:159], v[158:159], v[118:119]
	v_fma_f64 v[240:241], v[222:223], s[36:37], v[252:253]
	v_mul_f64 v[242:243], v[230:231], s[36:37]
	v_fma_f64 v[246:247], v[222:223], s[36:37], -v[252:253]
	v_fma_f64 v[252:253], v[222:223], s[38:39], v[232:233]
	s_mov_b32 s29, 0x3fd71e95
	s_mov_b32 s28, s2
	v_add_f64 v[156:157], v[156:157], v[124:125]
	v_add_f64 v[158:159], v[158:159], v[126:127]
	s_mov_b32 s45, 0x3fe58eea
	s_mov_b32 s44, s12
	;; [unrolled: 1-line block ×6, first 2 shown]
	v_add_f64 v[156:157], v[156:157], v[132:133]
	v_add_f64 v[158:159], v[158:159], v[134:135]
	s_mov_b32 s55, 0x3fe9895b
	s_mov_b32 s54, s30
	;; [unrolled: 1-line block ×5, first 2 shown]
	v_add_f64 v[150:151], v[144:145], v[150:151]
	v_add_f64 v[156:157], v[156:157], v[140:141]
	;; [unrolled: 1-line block ×4, first 2 shown]
	v_fma_f64 v[164:165], v[224:225], s[34:35], v[200:201]
	v_add_f64 v[166:167], v[144:145], v[166:167]
	v_fma_f64 v[200:201], v[224:225], s[16:17], v[200:201]
	v_add_f64 v[202:203], v[144:145], v[202:203]
	v_add_f64 v[218:219], v[144:145], v[206:207]
	;; [unrolled: 1-line block ×3, first 2 shown]
	v_mul_f64 v[152:153], v[230:231], s[0:1]
	v_fma_f64 v[156:157], v[222:223], s[4:5], v[160:161]
	v_fma_f64 v[160:161], v[222:223], s[4:5], -v[160:161]
	v_mul_f64 v[230:231], v[230:231], s[38:39]
	v_fma_f64 v[222:223], v[222:223], s[38:39], -v[232:233]
	v_add_f64 v[34:35], v[158:159], v[154:155]
	v_add_f64 v[154:155], v[144:145], v[148:149]
	v_fma_f64 v[158:159], v[224:225], s[44:45], v[162:163]
	v_fma_f64 v[148:149], v[224:225], s[28:29], v[152:153]
	;; [unrolled: 1-line block ×3, first 2 shown]
	v_add_f64 v[156:157], v[144:145], v[156:157]
	v_add_f64 v[160:161], v[144:145], v[160:161]
	v_fma_f64 v[162:163], v[224:225], s[12:13], v[162:163]
	v_fma_f64 v[206:207], v[224:225], s[42:43], v[210:211]
	v_add_f64 v[208:209], v[144:145], v[208:209]
	v_fma_f64 v[210:211], v[224:225], s[24:25], v[210:211]
	v_add_f64 v[220:221], v[144:145], v[220:221]
	;; [unrolled: 2-line block ×8, first 2 shown]
	v_add_f64 v[138:139], v[138:139], -v[142:143]
	v_add_f64 v[148:149], v[146:147], v[148:149]
	v_add_f64 v[152:153], v[146:147], v[152:153]
	;; [unrolled: 1-line block ×15, first 2 shown]
	v_add_f64 v[136:137], v[136:137], -v[140:141]
	v_mul_f64 v[140:141], v[138:139], s[12:13]
	v_mul_f64 v[232:233], v[138:139], s[34:35]
	s_waitcnt lgkmcnt(0)
	; wave barrier
	buffer_load_dword v0, off, s[64:67], 0 offset:612 ; 4-byte Folded Reload
	v_fma_f64 v[142:143], v[222:223], s[4:5], v[140:141]
	v_fma_f64 v[140:141], v[222:223], s[4:5], -v[140:141]
	v_add_f64 v[142:143], v[142:143], v[154:155]
	v_mul_f64 v[154:155], v[224:225], s[4:5]
	v_add_f64 v[140:141], v[140:141], v[150:151]
	v_fma_f64 v[150:151], v[136:137], s[12:13], v[154:155]
	v_fma_f64 v[230:231], v[136:137], s[44:45], v[154:155]
	v_add_f64 v[150:151], v[150:151], v[152:153]
	v_mul_f64 v[152:153], v[138:139], s[20:21]
	v_add_f64 v[148:149], v[230:231], v[148:149]
	v_fma_f64 v[154:155], v[222:223], s[18:19], v[152:153]
	v_fma_f64 v[152:153], v[222:223], s[18:19], -v[152:153]
	v_add_f64 v[154:155], v[154:155], v[156:157]
	v_mul_f64 v[156:157], v[224:225], s[18:19]
	v_add_f64 v[152:153], v[152:153], v[160:161]
	v_mul_f64 v[160:161], v[138:139], s[30:31]
	v_fma_f64 v[230:231], v[136:137], s[50:51], v[156:157]
	v_fma_f64 v[156:157], v[136:137], s[20:21], v[156:157]
	v_add_f64 v[158:159], v[230:231], v[158:159]
	v_add_f64 v[156:157], v[156:157], v[162:163]
	v_fma_f64 v[162:163], v[222:223], s[26:27], v[160:161]
	v_fma_f64 v[160:161], v[222:223], s[26:27], -v[160:161]
	v_add_f64 v[162:163], v[162:163], v[204:205]
	v_mul_f64 v[204:205], v[224:225], s[26:27]
	v_add_f64 v[160:161], v[160:161], v[166:167]
	v_fma_f64 v[166:167], v[136:137], s[30:31], v[204:205]
	v_fma_f64 v[230:231], v[136:137], s[54:55], v[204:205]
	v_add_f64 v[166:167], v[166:167], v[200:201]
	v_mul_f64 v[200:201], v[138:139], s[46:47]
	v_add_f64 v[164:165], v[230:231], v[164:165]
	v_fma_f64 v[204:205], v[222:223], s[38:39], v[200:201]
	v_fma_f64 v[200:201], v[222:223], s[38:39], -v[200:201]
	v_add_f64 v[202:203], v[204:205], v[202:203]
	v_mul_f64 v[204:205], v[224:225], s[38:39]
	v_add_f64 v[200:201], v[200:201], v[214:215]
	v_mul_f64 v[214:215], v[138:139], s[48:49]
	v_fma_f64 v[230:231], v[136:137], s[52:53], v[204:205]
	v_fma_f64 v[204:205], v[136:137], s[46:47], v[204:205]
	v_add_f64 v[212:213], v[230:231], v[212:213]
	v_add_f64 v[204:205], v[204:205], v[216:217]
	v_fma_f64 v[216:217], v[222:223], s[36:37], v[214:215]
	v_fma_f64 v[214:215], v[222:223], s[36:37], -v[214:215]
	v_add_f64 v[216:217], v[216:217], v[218:219]
	v_mul_f64 v[218:219], v[224:225], s[36:37]
	v_add_f64 v[208:209], v[214:215], v[208:209]
	v_fma_f64 v[214:215], v[136:137], s[48:49], v[218:219]
	v_fma_f64 v[230:231], v[136:137], s[40:41], v[218:219]
	v_add_f64 v[210:211], v[214:215], v[210:211]
	v_mul_f64 v[214:215], v[138:139], s[42:43]
	v_add_f64 v[206:207], v[230:231], v[206:207]
	v_mul_f64 v[138:139], v[138:139], s[28:29]
	v_fma_f64 v[218:219], v[222:223], s[22:23], v[214:215]
	v_fma_f64 v[214:215], v[222:223], s[22:23], -v[214:215]
	v_add_f64 v[218:219], v[218:219], v[220:221]
	v_mul_f64 v[220:221], v[224:225], s[22:23]
	v_add_f64 v[214:215], v[214:215], v[234:235]
	v_fma_f64 v[234:235], v[222:223], s[14:15], v[232:233]
	v_fma_f64 v[232:233], v[222:223], s[14:15], -v[232:233]
	v_fma_f64 v[230:231], v[136:137], s[24:25], v[220:221]
	v_fma_f64 v[220:221], v[136:137], s[42:43], v[220:221]
	v_add_f64 v[234:235], v[234:235], v[240:241]
	v_fma_f64 v[240:241], v[222:223], s[0:1], v[138:139]
	v_fma_f64 v[138:139], v[222:223], s[0:1], -v[138:139]
	v_add_f64 v[232:233], v[232:233], v[246:247]
	v_add_f64 v[230:231], v[230:231], v[238:239]
	;; [unrolled: 1-line block ×3, first 2 shown]
	v_mul_f64 v[236:237], v[224:225], s[14:15]
	v_mul_f64 v[224:225], v[224:225], s[0:1]
	v_add_f64 v[138:139], v[138:139], v[144:145]
	v_add_f64 v[144:145], v[128:129], v[132:133]
	v_add_f64 v[128:129], v[128:129], -v[132:133]
	v_add_f64 v[240:241], v[240:241], v[252:253]
	v_fma_f64 v[238:239], v[136:137], s[16:17], v[236:237]
	v_fma_f64 v[236:237], v[136:137], s[34:35], v[236:237]
	v_add_f64 v[238:239], v[238:239], v[244:245]
	v_add_f64 v[236:237], v[236:237], v[242:243]
	v_fma_f64 v[242:243], v[136:137], s[2:3], v[224:225]
	v_fma_f64 v[136:137], v[136:137], s[28:29], v[224:225]
	v_add_f64 v[242:243], v[242:243], v[248:249]
	v_add_f64 v[136:137], v[136:137], v[146:147]
	;; [unrolled: 1-line block ×3, first 2 shown]
	v_add_f64 v[130:131], v[130:131], -v[134:135]
	v_mul_f64 v[224:225], v[146:147], s[18:19]
	v_mul_f64 v[132:133], v[130:131], s[16:17]
	v_fma_f64 v[134:135], v[144:145], s[14:15], v[132:133]
	v_fma_f64 v[132:133], v[144:145], s[14:15], -v[132:133]
	v_add_f64 v[134:135], v[134:135], v[142:143]
	v_mul_f64 v[142:143], v[146:147], s[14:15]
	v_add_f64 v[132:133], v[132:133], v[140:141]
	v_fma_f64 v[222:223], v[128:129], s[34:35], v[142:143]
	v_fma_f64 v[140:141], v[128:129], s[16:17], v[142:143]
	v_mul_f64 v[142:143], v[130:131], s[30:31]
	v_add_f64 v[148:149], v[222:223], v[148:149]
	v_add_f64 v[140:141], v[140:141], v[150:151]
	v_fma_f64 v[150:151], v[144:145], s[26:27], v[142:143]
	v_fma_f64 v[142:143], v[144:145], s[26:27], -v[142:143]
	v_add_f64 v[150:151], v[150:151], v[154:155]
	v_mul_f64 v[154:155], v[146:147], s[26:27]
	v_add_f64 v[142:143], v[142:143], v[152:153]
	v_fma_f64 v[222:223], v[128:129], s[54:55], v[154:155]
	v_fma_f64 v[152:153], v[128:129], s[30:31], v[154:155]
	v_mul_f64 v[154:155], v[130:131], s[52:53]
	v_add_f64 v[158:159], v[222:223], v[158:159]
	v_add_f64 v[152:153], v[152:153], v[156:157]
	v_fma_f64 v[156:157], v[144:145], s[38:39], v[154:155]
	v_fma_f64 v[154:155], v[144:145], s[38:39], -v[154:155]
	v_add_f64 v[156:157], v[156:157], v[162:163]
	v_mul_f64 v[162:163], v[146:147], s[38:39]
	v_add_f64 v[154:155], v[154:155], v[160:161]
	v_fma_f64 v[222:223], v[128:129], s[46:47], v[162:163]
	v_fma_f64 v[160:161], v[128:129], s[52:53], v[162:163]
	v_mul_f64 v[162:163], v[130:131], s[42:43]
	v_add_f64 v[164:165], v[222:223], v[164:165]
	v_add_f64 v[160:161], v[160:161], v[166:167]
	v_fma_f64 v[166:167], v[144:145], s[22:23], v[162:163]
	v_fma_f64 v[162:163], v[144:145], s[22:23], -v[162:163]
	v_add_f64 v[166:167], v[166:167], v[202:203]
	v_mul_f64 v[202:203], v[146:147], s[22:23]
	v_add_f64 v[162:163], v[162:163], v[200:201]
	v_fma_f64 v[222:223], v[128:129], s[24:25], v[202:203]
	v_fma_f64 v[200:201], v[128:129], s[42:43], v[202:203]
	v_mul_f64 v[202:203], v[130:131], s[44:45]
	v_add_f64 v[212:213], v[222:223], v[212:213]
	v_add_f64 v[200:201], v[200:201], v[204:205]
	v_fma_f64 v[204:205], v[144:145], s[4:5], v[202:203]
	v_fma_f64 v[202:203], v[144:145], s[4:5], -v[202:203]
	v_add_f64 v[204:205], v[204:205], v[216:217]
	v_mul_f64 v[216:217], v[146:147], s[4:5]
	v_add_f64 v[202:203], v[202:203], v[208:209]
	v_fma_f64 v[208:209], v[128:129], s[44:45], v[216:217]
	v_fma_f64 v[222:223], v[128:129], s[12:13], v[216:217]
	v_add_f64 v[208:209], v[208:209], v[210:211]
	v_mul_f64 v[210:211], v[130:131], s[2:3]
	v_add_f64 v[206:207], v[222:223], v[206:207]
	v_fma_f64 v[216:217], v[144:145], s[0:1], v[210:211]
	v_fma_f64 v[210:211], v[144:145], s[0:1], -v[210:211]
	v_add_f64 v[216:217], v[216:217], v[218:219]
	v_mul_f64 v[218:219], v[146:147], s[0:1]
	v_add_f64 v[210:211], v[210:211], v[214:215]
	v_mul_f64 v[146:147], v[146:147], s[36:37]
	v_fma_f64 v[222:223], v[128:129], s[28:29], v[218:219]
	v_fma_f64 v[214:215], v[128:129], s[2:3], v[218:219]
	v_mul_f64 v[218:219], v[130:131], s[20:21]
	v_mul_f64 v[130:131], v[130:131], s[40:41]
	v_add_f64 v[222:223], v[222:223], v[230:231]
	v_add_f64 v[214:215], v[214:215], v[220:221]
	v_fma_f64 v[220:221], v[144:145], s[18:19], v[218:219]
	v_fma_f64 v[218:219], v[144:145], s[18:19], -v[218:219]
	v_fma_f64 v[230:231], v[128:129], s[50:51], v[224:225]
	v_fma_f64 v[224:225], v[128:129], s[20:21], v[224:225]
	v_add_f64 v[220:221], v[220:221], v[234:235]
	v_add_f64 v[218:219], v[218:219], v[232:233]
	v_fma_f64 v[232:233], v[144:145], s[36:37], v[130:131]
	v_fma_f64 v[130:131], v[144:145], s[36:37], -v[130:131]
	v_fma_f64 v[234:235], v[128:129], s[48:49], v[146:147]
	v_fma_f64 v[128:129], v[128:129], s[40:41], v[146:147]
	v_add_f64 v[230:231], v[230:231], v[238:239]
	v_add_f64 v[224:225], v[224:225], v[236:237]
	;; [unrolled: 1-line block ×5, first 2 shown]
	v_add_f64 v[122:123], v[122:123], -v[126:127]
	v_add_f64 v[128:129], v[128:129], v[136:137]
	v_add_f64 v[136:137], v[120:121], v[124:125]
	v_add_f64 v[120:121], v[120:121], -v[124:125]
	v_add_f64 v[234:235], v[234:235], v[242:243]
	v_mul_f64 v[146:147], v[138:139], s[38:39]
	v_mul_f64 v[124:125], v[122:123], s[20:21]
	v_fma_f64 v[126:127], v[136:137], s[18:19], v[124:125]
	v_fma_f64 v[124:125], v[136:137], s[18:19], -v[124:125]
	v_add_f64 v[126:127], v[126:127], v[134:135]
	v_mul_f64 v[134:135], v[138:139], s[18:19]
	v_add_f64 v[124:125], v[124:125], v[132:133]
	v_fma_f64 v[144:145], v[120:121], s[50:51], v[134:135]
	v_fma_f64 v[132:133], v[120:121], s[20:21], v[134:135]
	v_mul_f64 v[134:135], v[122:123], s[46:47]
	v_add_f64 v[144:145], v[144:145], v[148:149]
	v_add_f64 v[132:133], v[132:133], v[140:141]
	v_fma_f64 v[140:141], v[136:137], s[38:39], v[134:135]
	v_fma_f64 v[134:135], v[136:137], s[38:39], -v[134:135]
	v_fma_f64 v[148:149], v[120:121], s[52:53], v[146:147]
	v_add_f64 v[140:141], v[140:141], v[150:151]
	v_add_f64 v[134:135], v[134:135], v[142:143]
	v_fma_f64 v[142:143], v[120:121], s[46:47], v[146:147]
	v_mul_f64 v[146:147], v[122:123], s[42:43]
	v_add_f64 v[148:149], v[148:149], v[158:159]
	v_add_f64 v[142:143], v[142:143], v[152:153]
	v_fma_f64 v[150:151], v[136:137], s[22:23], v[146:147]
	v_mul_f64 v[152:153], v[138:139], s[22:23]
	v_fma_f64 v[146:147], v[136:137], s[22:23], -v[146:147]
	v_add_f64 v[150:151], v[150:151], v[156:157]
	v_fma_f64 v[156:157], v[120:121], s[24:25], v[152:153]
	v_add_f64 v[146:147], v[146:147], v[154:155]
	v_fma_f64 v[152:153], v[120:121], s[42:43], v[152:153]
	v_mul_f64 v[154:155], v[122:123], s[28:29]
	v_add_f64 v[156:157], v[156:157], v[164:165]
	v_add_f64 v[152:153], v[152:153], v[160:161]
	v_fma_f64 v[158:159], v[136:137], s[0:1], v[154:155]
	v_mul_f64 v[160:161], v[138:139], s[0:1]
	v_fma_f64 v[154:155], v[136:137], s[0:1], -v[154:155]
	v_add_f64 v[158:159], v[158:159], v[166:167]
	v_fma_f64 v[164:165], v[120:121], s[2:3], v[160:161]
	;; [unrolled: 10-line block ×4, first 2 shown]
	v_add_f64 v[202:203], v[202:203], v[210:211]
	v_fma_f64 v[208:209], v[120:121], s[40:41], v[208:209]
	v_mul_f64 v[210:211], v[122:123], s[54:55]
	v_mul_f64 v[122:123], v[122:123], s[44:45]
	v_mul_f64 v[216:217], v[138:139], s[26:27]
	v_mul_f64 v[138:139], v[138:139], s[4:5]
	v_add_f64 v[212:213], v[212:213], v[222:223]
	v_add_f64 v[208:209], v[208:209], v[214:215]
	v_fma_f64 v[214:215], v[136:137], s[26:27], v[210:211]
	v_fma_f64 v[210:211], v[136:137], s[26:27], -v[210:211]
	v_fma_f64 v[222:223], v[120:121], s[12:13], v[138:139]
	v_add_f64 v[214:215], v[214:215], v[220:221]
	v_add_f64 v[210:211], v[210:211], v[218:219]
	v_fma_f64 v[218:219], v[136:137], s[4:5], v[122:123]
	v_fma_f64 v[122:123], v[136:137], s[4:5], -v[122:123]
	v_fma_f64 v[220:221], v[120:121], s[30:31], v[216:217]
	v_fma_f64 v[216:217], v[120:121], s[54:55], v[216:217]
	;; [unrolled: 1-line block ×3, first 2 shown]
	v_add_f64 v[222:223], v[222:223], v[234:235]
	v_add_f64 v[218:219], v[218:219], v[232:233]
	;; [unrolled: 1-line block ×4, first 2 shown]
	v_add_f64 v[114:115], v[114:115], -v[118:119]
	v_add_f64 v[120:121], v[120:121], v[128:129]
	v_add_f64 v[128:129], v[112:113], v[116:117]
	v_add_f64 v[112:113], v[112:113], -v[116:117]
	v_add_f64 v[220:221], v[220:221], v[230:231]
	v_add_f64 v[216:217], v[216:217], v[224:225]
	v_mul_f64 v[138:139], v[130:131], s[36:37]
	v_mul_f64 v[116:117], v[114:115], s[24:25]
	v_fma_f64 v[118:119], v[128:129], s[22:23], v[116:117]
	v_fma_f64 v[116:117], v[128:129], s[22:23], -v[116:117]
	v_add_f64 v[118:119], v[118:119], v[126:127]
	v_mul_f64 v[126:127], v[130:131], s[22:23]
	v_add_f64 v[116:117], v[116:117], v[124:125]
	v_fma_f64 v[136:137], v[112:113], s[42:43], v[126:127]
	v_fma_f64 v[124:125], v[112:113], s[24:25], v[126:127]
	v_mul_f64 v[126:127], v[114:115], s[48:49]
	v_add_f64 v[136:137], v[136:137], v[144:145]
	v_add_f64 v[124:125], v[124:125], v[132:133]
	v_fma_f64 v[132:133], v[128:129], s[36:37], v[126:127]
	v_fma_f64 v[126:127], v[128:129], s[36:37], -v[126:127]
	v_mul_f64 v[144:145], v[130:131], s[4:5]
	v_add_f64 v[132:133], v[132:133], v[140:141]
	v_fma_f64 v[140:141], v[112:113], s[40:41], v[138:139]
	v_add_f64 v[126:127], v[126:127], v[134:135]
	v_fma_f64 v[134:135], v[112:113], s[48:49], v[138:139]
	v_mul_f64 v[138:139], v[114:115], s[44:45]
	v_add_f64 v[140:141], v[140:141], v[148:149]
	v_fma_f64 v[148:149], v[112:113], s[12:13], v[144:145]
	v_add_f64 v[134:135], v[134:135], v[142:143]
	v_fma_f64 v[142:143], v[128:129], s[4:5], v[138:139]
	v_fma_f64 v[138:139], v[128:129], s[4:5], -v[138:139]
	v_fma_f64 v[144:145], v[112:113], s[44:45], v[144:145]
	v_add_f64 v[148:149], v[148:149], v[156:157]
	v_add_f64 v[142:143], v[142:143], v[150:151]
	;; [unrolled: 1-line block ×3, first 2 shown]
	v_mul_f64 v[146:147], v[114:115], s[16:17]
	v_add_f64 v[144:145], v[144:145], v[152:153]
	v_mul_f64 v[152:153], v[130:131], s[14:15]
	v_fma_f64 v[150:151], v[128:129], s[14:15], v[146:147]
	v_fma_f64 v[146:147], v[128:129], s[14:15], -v[146:147]
	v_fma_f64 v[156:157], v[112:113], s[34:35], v[152:153]
	v_fma_f64 v[152:153], v[112:113], s[16:17], v[152:153]
	v_add_f64 v[150:151], v[150:151], v[158:159]
	v_add_f64 v[146:147], v[146:147], v[154:155]
	v_mul_f64 v[154:155], v[114:115], s[46:47]
	v_add_f64 v[152:153], v[152:153], v[160:161]
	v_mul_f64 v[160:161], v[130:131], s[38:39]
	v_add_f64 v[156:157], v[156:157], v[164:165]
	v_fma_f64 v[158:159], v[128:129], s[38:39], v[154:155]
	v_fma_f64 v[154:155], v[128:129], s[38:39], -v[154:155]
	v_fma_f64 v[164:165], v[112:113], s[52:53], v[160:161]
	v_fma_f64 v[160:161], v[112:113], s[46:47], v[160:161]
	v_add_f64 v[158:159], v[158:159], v[166:167]
	v_add_f64 v[154:155], v[154:155], v[162:163]
	v_mul_f64 v[162:163], v[114:115], s[50:51]
	v_add_f64 v[160:161], v[160:161], v[200:201]
	v_mul_f64 v[200:201], v[130:131], s[18:19]
	v_add_f64 v[164:165], v[164:165], v[204:205]
	v_fma_f64 v[166:167], v[128:129], s[18:19], v[162:163]
	v_fma_f64 v[162:163], v[128:129], s[18:19], -v[162:163]
	v_fma_f64 v[204:205], v[112:113], s[20:21], v[200:201]
	v_fma_f64 v[200:201], v[112:113], s[50:51], v[200:201]
	v_add_f64 v[166:167], v[166:167], v[206:207]
	v_add_f64 v[162:163], v[162:163], v[202:203]
	v_mul_f64 v[202:203], v[114:115], s[2:3]
	v_mul_f64 v[114:115], v[114:115], s[30:31]
	v_add_f64 v[200:201], v[200:201], v[208:209]
	v_mul_f64 v[208:209], v[130:131], s[0:1]
	v_mul_f64 v[130:131], v[130:131], s[26:27]
	v_add_f64 v[204:205], v[204:205], v[212:213]
	v_fma_f64 v[206:207], v[128:129], s[0:1], v[202:203]
	v_fma_f64 v[202:203], v[128:129], s[0:1], -v[202:203]
	v_fma_f64 v[212:213], v[112:113], s[28:29], v[208:209]
	v_fma_f64 v[208:209], v[112:113], s[2:3], v[208:209]
	v_add_f64 v[206:207], v[206:207], v[214:215]
	v_add_f64 v[202:203], v[202:203], v[210:211]
	v_fma_f64 v[210:211], v[128:129], s[26:27], v[114:115]
	v_fma_f64 v[114:115], v[128:129], s[26:27], -v[114:115]
	v_fma_f64 v[214:215], v[112:113], s[54:55], v[130:131]
	v_fma_f64 v[112:113], v[112:113], s[30:31], v[130:131]
	v_add_f64 v[212:213], v[212:213], v[220:221]
	v_add_f64 v[208:209], v[208:209], v[216:217]
	;; [unrolled: 1-line block ×5, first 2 shown]
	v_add_f64 v[106:107], v[106:107], -v[110:111]
	v_add_f64 v[112:113], v[112:113], v[120:121]
	v_add_f64 v[120:121], v[104:105], v[108:109]
	v_add_f64 v[104:105], v[104:105], -v[108:109]
	v_add_f64 v[214:215], v[214:215], v[222:223]
	v_mul_f64 v[130:131], v[122:123], s[22:23]
	v_mul_f64 v[108:109], v[106:107], s[30:31]
	v_fma_f64 v[110:111], v[120:121], s[26:27], v[108:109]
	v_fma_f64 v[108:109], v[120:121], s[26:27], -v[108:109]
	v_add_f64 v[110:111], v[110:111], v[118:119]
	v_mul_f64 v[118:119], v[122:123], s[26:27]
	v_add_f64 v[108:109], v[108:109], v[116:117]
	v_fma_f64 v[128:129], v[104:105], s[54:55], v[118:119]
	v_fma_f64 v[116:117], v[104:105], s[30:31], v[118:119]
	v_mul_f64 v[118:119], v[106:107], s[42:43]
	v_add_f64 v[128:129], v[128:129], v[136:137]
	v_add_f64 v[116:117], v[116:117], v[124:125]
	v_fma_f64 v[124:125], v[120:121], s[22:23], v[118:119]
	v_fma_f64 v[118:119], v[120:121], s[22:23], -v[118:119]
	v_mul_f64 v[136:137], v[122:123], s[0:1]
	v_add_f64 v[124:125], v[124:125], v[132:133]
	v_fma_f64 v[132:133], v[104:105], s[24:25], v[130:131]
	v_add_f64 v[118:119], v[118:119], v[126:127]
	v_fma_f64 v[126:127], v[104:105], s[42:43], v[130:131]
	v_mul_f64 v[130:131], v[106:107], s[2:3]
	v_add_f64 v[132:133], v[132:133], v[140:141]
	v_fma_f64 v[140:141], v[104:105], s[28:29], v[136:137]
	v_add_f64 v[126:127], v[126:127], v[134:135]
	v_fma_f64 v[134:135], v[120:121], s[0:1], v[130:131]
	v_fma_f64 v[130:131], v[120:121], s[0:1], -v[130:131]
	v_fma_f64 v[136:137], v[104:105], s[2:3], v[136:137]
	v_add_f64 v[140:141], v[140:141], v[148:149]
	v_add_f64 v[134:135], v[134:135], v[142:143]
	;; [unrolled: 1-line block ×3, first 2 shown]
	v_mul_f64 v[138:139], v[106:107], s[40:41]
	v_add_f64 v[136:137], v[136:137], v[144:145]
	v_mul_f64 v[144:145], v[122:123], s[36:37]
	v_fma_f64 v[142:143], v[120:121], s[36:37], v[138:139]
	v_fma_f64 v[138:139], v[120:121], s[36:37], -v[138:139]
	v_fma_f64 v[148:149], v[104:105], s[48:49], v[144:145]
	v_fma_f64 v[144:145], v[104:105], s[40:41], v[144:145]
	v_add_f64 v[142:143], v[142:143], v[150:151]
	v_add_f64 v[138:139], v[138:139], v[146:147]
	v_mul_f64 v[146:147], v[106:107], s[50:51]
	v_add_f64 v[144:145], v[144:145], v[152:153]
	v_mul_f64 v[152:153], v[122:123], s[18:19]
	v_add_f64 v[148:149], v[148:149], v[156:157]
	v_fma_f64 v[150:151], v[120:121], s[18:19], v[146:147]
	v_fma_f64 v[146:147], v[120:121], s[18:19], -v[146:147]
	v_fma_f64 v[156:157], v[104:105], s[20:21], v[152:153]
	v_fma_f64 v[152:153], v[104:105], s[50:51], v[152:153]
	v_add_f64 v[150:151], v[150:151], v[158:159]
	v_add_f64 v[146:147], v[146:147], v[154:155]
	v_mul_f64 v[154:155], v[106:107], s[12:13]
	v_add_f64 v[152:153], v[152:153], v[160:161]
	v_mul_f64 v[160:161], v[122:123], s[4:5]
	v_add_f64 v[156:157], v[156:157], v[164:165]
	v_fma_f64 v[158:159], v[120:121], s[4:5], v[154:155]
	v_fma_f64 v[154:155], v[120:121], s[4:5], -v[154:155]
	v_fma_f64 v[164:165], v[104:105], s[44:45], v[160:161]
	v_fma_f64 v[160:161], v[104:105], s[12:13], v[160:161]
	v_add_f64 v[158:159], v[158:159], v[166:167]
	v_add_f64 v[154:155], v[154:155], v[162:163]
	v_mul_f64 v[162:163], v[106:107], s[46:47]
	v_mul_f64 v[106:107], v[106:107], s[34:35]
	v_add_f64 v[160:161], v[160:161], v[200:201]
	v_mul_f64 v[200:201], v[122:123], s[38:39]
	v_mul_f64 v[122:123], v[122:123], s[14:15]
	v_add_f64 v[164:165], v[164:165], v[204:205]
	v_fma_f64 v[166:167], v[120:121], s[38:39], v[162:163]
	v_fma_f64 v[162:163], v[120:121], s[38:39], -v[162:163]
	v_fma_f64 v[204:205], v[104:105], s[52:53], v[200:201]
	v_fma_f64 v[200:201], v[104:105], s[46:47], v[200:201]
	v_add_f64 v[166:167], v[166:167], v[206:207]
	v_add_f64 v[162:163], v[162:163], v[202:203]
	v_fma_f64 v[202:203], v[120:121], s[14:15], v[106:107]
	v_fma_f64 v[106:107], v[120:121], s[14:15], -v[106:107]
	v_fma_f64 v[206:207], v[104:105], s[16:17], v[122:123]
	v_fma_f64 v[104:105], v[104:105], s[34:35], v[122:123]
	v_add_f64 v[204:205], v[204:205], v[212:213]
	v_add_f64 v[200:201], v[200:201], v[208:209]
	v_add_f64 v[208:209], v[88:89], -v[92:93]
	v_add_f64 v[202:203], v[202:203], v[210:211]
	v_add_f64 v[106:107], v[106:107], v[114:115]
	;; [unrolled: 1-line block ×3, first 2 shown]
	v_add_f64 v[98:99], v[98:99], -v[102:103]
	v_add_f64 v[104:105], v[104:105], v[112:113]
	v_add_f64 v[112:113], v[96:97], v[100:101]
	v_add_f64 v[96:97], v[96:97], -v[100:101]
	v_add_f64 v[210:211], v[90:91], -v[94:95]
	v_add_f64 v[206:207], v[206:207], v[214:215]
	v_mul_f64 v[122:123], v[114:115], s[14:15]
	v_mul_f64 v[100:101], v[98:99], s[40:41]
	v_fma_f64 v[102:103], v[112:113], s[36:37], v[100:101]
	v_fma_f64 v[100:101], v[112:113], s[36:37], -v[100:101]
	v_add_f64 v[102:103], v[102:103], v[110:111]
	v_mul_f64 v[110:111], v[114:115], s[36:37]
	v_add_f64 v[100:101], v[100:101], v[108:109]
	v_fma_f64 v[120:121], v[96:97], s[48:49], v[110:111]
	v_fma_f64 v[108:109], v[96:97], s[40:41], v[110:111]
	v_mul_f64 v[110:111], v[98:99], s[34:35]
	v_add_f64 v[120:121], v[120:121], v[128:129]
	v_add_f64 v[108:109], v[108:109], v[116:117]
	v_fma_f64 v[116:117], v[112:113], s[14:15], v[110:111]
	v_fma_f64 v[110:111], v[112:113], s[14:15], -v[110:111]
	v_mul_f64 v[128:129], v[114:115], s[18:19]
	v_add_f64 v[116:117], v[116:117], v[124:125]
	v_fma_f64 v[124:125], v[96:97], s[16:17], v[122:123]
	v_add_f64 v[110:111], v[110:111], v[118:119]
	v_fma_f64 v[118:119], v[96:97], s[34:35], v[122:123]
	v_mul_f64 v[122:123], v[98:99], s[20:21]
	v_add_f64 v[124:125], v[124:125], v[132:133]
	v_fma_f64 v[132:133], v[96:97], s[50:51], v[128:129]
	v_add_f64 v[118:119], v[118:119], v[126:127]
	v_fma_f64 v[126:127], v[112:113], s[18:19], v[122:123]
	v_fma_f64 v[122:123], v[112:113], s[18:19], -v[122:123]
	v_fma_f64 v[128:129], v[96:97], s[20:21], v[128:129]
	v_add_f64 v[132:133], v[132:133], v[140:141]
	v_add_f64 v[126:127], v[126:127], v[134:135]
	v_add_f64 v[122:123], v[122:123], v[130:131]
	v_add_f64 v[128:129], v[128:129], v[136:137]
	v_mul_f64 v[130:131], v[98:99], s[54:55]
	v_mul_f64 v[136:137], v[114:115], s[26:27]
	v_fma_f64 v[134:135], v[112:113], s[26:27], v[130:131]
	v_fma_f64 v[140:141], v[96:97], s[30:31], v[136:137]
	v_fma_f64 v[130:131], v[112:113], s[26:27], -v[130:131]
	v_fma_f64 v[136:137], v[96:97], s[54:55], v[136:137]
	v_add_f64 v[134:135], v[134:135], v[142:143]
	v_add_f64 v[140:141], v[140:141], v[148:149]
	v_add_f64 v[130:131], v[130:131], v[138:139]
	v_add_f64 v[136:137], v[136:137], v[144:145]
	v_mul_f64 v[138:139], v[98:99], s[2:3]
	v_mul_f64 v[144:145], v[114:115], s[0:1]
	v_fma_f64 v[142:143], v[112:113], s[0:1], v[138:139]
	;; [unrolled: 10-line block ×3, first 2 shown]
	v_fma_f64 v[156:157], v[96:97], s[52:53], v[152:153]
	v_fma_f64 v[146:147], v[112:113], s[38:39], -v[146:147]
	v_fma_f64 v[152:153], v[96:97], s[46:47], v[152:153]
	v_add_f64 v[150:151], v[150:151], v[158:159]
	v_add_f64 v[156:157], v[156:157], v[164:165]
	;; [unrolled: 1-line block ×4, first 2 shown]
	v_mul_f64 v[154:155], v[98:99], s[44:45]
	v_mul_f64 v[160:161], v[114:115], s[4:5]
	;; [unrolled: 1-line block ×4, first 2 shown]
	v_fma_f64 v[158:159], v[112:113], s[4:5], v[154:155]
	v_fma_f64 v[164:165], v[96:97], s[12:13], v[160:161]
	v_fma_f64 v[154:155], v[112:113], s[4:5], -v[154:155]
	v_fma_f64 v[160:161], v[96:97], s[44:45], v[160:161]
	v_add_f64 v[158:159], v[158:159], v[166:167]
	v_add_f64 v[164:165], v[164:165], v[204:205]
	v_fma_f64 v[166:167], v[96:97], s[42:43], v[114:115]
	v_add_f64 v[204:205], v[88:89], v[92:93]
	v_mul_f64 v[92:93], v[210:211], s[46:47]
	v_add_f64 v[154:155], v[154:155], v[162:163]
	v_fma_f64 v[162:163], v[112:113], s[22:23], v[98:99]
	v_fma_f64 v[96:97], v[96:97], s[24:25], v[114:115]
	v_fma_f64 v[98:99], v[112:113], s[22:23], -v[98:99]
	v_add_f64 v[160:161], v[160:161], v[200:201]
	v_add_f64 v[166:167], v[166:167], v[206:207]
	;; [unrolled: 1-line block ×3, first 2 shown]
	v_fma_f64 v[88:89], v[204:205], s[38:39], v[92:93]
	v_fma_f64 v[92:93], v[204:205], s[38:39], -v[92:93]
	v_add_f64 v[162:163], v[162:163], v[202:203]
	v_add_f64 v[202:203], v[96:97], v[104:105]
	;; [unrolled: 1-line block ×3, first 2 shown]
	v_mul_f64 v[94:95], v[206:207], s[38:39]
	v_add_f64 v[88:89], v[88:89], v[102:103]
	v_add_f64 v[92:93], v[92:93], v[100:101]
	v_mul_f64 v[100:101], v[210:211], s[28:29]
	v_mul_f64 v[102:103], v[206:207], s[0:1]
	v_fma_f64 v[90:91], v[208:209], s[52:53], v[94:95]
	v_fma_f64 v[94:95], v[208:209], s[46:47], v[94:95]
	;; [unrolled: 1-line block ×3, first 2 shown]
	v_fma_f64 v[100:101], v[204:205], s[0:1], -v[100:101]
	v_fma_f64 v[98:99], v[208:209], s[2:3], v[102:103]
	v_fma_f64 v[102:103], v[208:209], s[28:29], v[102:103]
	v_add_f64 v[90:91], v[90:91], v[120:121]
	v_add_f64 v[94:95], v[94:95], v[108:109]
	v_mul_f64 v[108:109], v[210:211], s[40:41]
	v_add_f64 v[96:97], v[96:97], v[116:117]
	v_add_f64 v[100:101], v[100:101], v[110:111]
	v_mul_f64 v[110:111], v[206:207], s[36:37]
	v_mul_f64 v[116:117], v[210:211], s[44:45]
	v_add_f64 v[98:99], v[98:99], v[124:125]
	v_add_f64 v[102:103], v[102:103], v[118:119]
	v_mul_f64 v[118:119], v[206:207], s[4:5]
	v_fma_f64 v[104:105], v[204:205], s[36:37], v[108:109]
	v_mul_f64 v[124:125], v[210:211], s[30:31]
	v_fma_f64 v[108:109], v[204:205], s[36:37], -v[108:109]
	v_fma_f64 v[106:107], v[208:209], s[48:49], v[110:111]
	v_fma_f64 v[110:111], v[208:209], s[40:41], v[110:111]
	;; [unrolled: 1-line block ×3, first 2 shown]
	v_fma_f64 v[116:117], v[204:205], s[4:5], -v[116:117]
	v_fma_f64 v[114:115], v[208:209], s[12:13], v[118:119]
	v_add_f64 v[104:105], v[104:105], v[126:127]
	v_mul_f64 v[126:127], v[206:207], s[26:27]
	v_fma_f64 v[120:121], v[204:205], s[26:27], v[124:125]
	v_add_f64 v[106:107], v[106:107], v[132:133]
	v_mul_f64 v[132:133], v[210:211], s[34:35]
	v_add_f64 v[108:109], v[108:109], v[122:123]
	v_add_f64 v[110:111], v[110:111], v[128:129]
	;; [unrolled: 1-line block ×3, first 2 shown]
	v_mul_f64 v[134:135], v[206:207], s[14:15]
	v_fma_f64 v[122:123], v[208:209], s[54:55], v[126:127]
	v_add_f64 v[114:115], v[114:115], v[140:141]
	v_fma_f64 v[118:119], v[208:209], s[44:45], v[118:119]
	v_fma_f64 v[128:129], v[204:205], s[14:15], v[132:133]
	v_add_f64 v[120:121], v[120:121], v[142:143]
	v_fma_f64 v[124:125], v[204:205], s[26:27], -v[124:125]
	v_mul_f64 v[140:141], v[210:211], s[24:25]
	v_mul_f64 v[142:143], v[206:207], s[22:23]
	v_add_f64 v[122:123], v[122:123], v[148:149]
	v_fma_f64 v[126:127], v[208:209], s[30:31], v[126:127]
	v_fma_f64 v[132:133], v[204:205], s[14:15], -v[132:133]
	v_add_f64 v[128:129], v[128:129], v[150:151]
	v_mul_f64 v[148:149], v[210:211], s[50:51]
	v_mul_f64 v[150:151], v[206:207], s[18:19]
	v_add_f64 v[116:117], v[116:117], v[130:131]
	v_fma_f64 v[130:131], v[208:209], s[16:17], v[134:135]
	v_add_f64 v[118:119], v[118:119], v[136:137]
	v_add_f64 v[124:125], v[124:125], v[138:139]
	v_fma_f64 v[136:137], v[204:205], s[22:23], v[140:141]
	v_fma_f64 v[138:139], v[208:209], s[42:43], v[142:143]
	v_add_f64 v[126:127], v[126:127], v[144:145]
	v_add_f64 v[132:133], v[132:133], v[146:147]
	v_fma_f64 v[134:135], v[208:209], s[34:35], v[134:135]
	v_fma_f64 v[140:141], v[204:205], s[22:23], -v[140:141]
	v_fma_f64 v[142:143], v[208:209], s[24:25], v[142:143]
	v_fma_f64 v[144:145], v[204:205], s[18:19], v[148:149]
	;; [unrolled: 1-line block ×3, first 2 shown]
	v_fma_f64 v[148:149], v[204:205], s[18:19], -v[148:149]
	v_fma_f64 v[150:151], v[208:209], s[50:51], v[150:151]
	v_add_f64 v[130:131], v[130:131], v[156:157]
	v_add_f64 v[136:137], v[136:137], v[158:159]
	;; [unrolled: 1-line block ×10, first 2 shown]
	s_waitcnt vmcnt(0)
	ds_write_b128 v0, v[32:35]
	ds_write_b128 v0, v[88:91] offset:16
	ds_write_b128 v0, v[96:99] offset:32
	;; [unrolled: 1-line block ×16, first 2 shown]
	s_and_saveexec_b64 s[56:57], vcc
	s_cbranch_execz .LBB0_13
; %bb.12:
	buffer_load_dword v158, off, s[64:67], 0 offset:4 ; 4-byte Folded Reload
	buffer_load_dword v159, off, s[64:67], 0 offset:8 ; 4-byte Folded Reload
	;; [unrolled: 1-line block ×16, first 2 shown]
	s_nop 0
	buffer_store_dword v44, off, s[64:67], 0 offset:1136 ; 4-byte Folded Spill
	s_nop 0
	buffer_store_dword v45, off, s[64:67], 0 offset:1140 ; 4-byte Folded Spill
	buffer_store_dword v46, off, s[64:67], 0 offset:1144 ; 4-byte Folded Spill
	;; [unrolled: 1-line block ×3, first 2 shown]
	buffer_load_dword v44, off, s[64:67], 0 offset:68 ; 4-byte Folded Reload
	s_nop 0
	buffer_load_dword v45, off, s[64:67], 0 offset:72 ; 4-byte Folded Reload
	buffer_load_dword v46, off, s[64:67], 0 offset:76 ; 4-byte Folded Reload
	;; [unrolled: 1-line block ×3, first 2 shown]
	s_nop 0
	buffer_store_dword v40, off, s[64:67], 0 offset:612 ; 4-byte Folded Spill
	s_nop 0
	buffer_store_dword v41, off, s[64:67], 0 offset:616 ; 4-byte Folded Spill
	buffer_store_dword v42, off, s[64:67], 0 offset:620 ; 4-byte Folded Spill
	;; [unrolled: 1-line block ×3, first 2 shown]
	buffer_load_dword v40, off, s[64:67], 0 offset:52 ; 4-byte Folded Reload
	s_nop 0
	buffer_load_dword v41, off, s[64:67], 0 offset:56 ; 4-byte Folded Reload
	buffer_load_dword v42, off, s[64:67], 0 offset:60 ; 4-byte Folded Reload
	;; [unrolled: 1-line block ×7, first 2 shown]
	v_add_f64 v[0:1], v[24:25], -v[28:29]
	v_add_f64 v[124:125], v[26:27], v[30:31]
	v_add_f64 v[142:143], v[26:27], -v[30:31]
	v_add_f64 v[212:213], v[24:25], v[28:29]
	v_mov_b32_e32 v66, v226
	v_mov_b32_e32 v67, v227
	;; [unrolled: 1-line block ×4, first 2 shown]
	v_mul_f64 v[108:109], v[0:1], s[50:51]
	v_mov_b32_e32 v63, v1
	v_mov_b32_e32 v62, v0
	;; [unrolled: 1-line block ×46, first 2 shown]
	s_waitcnt vmcnt(34)
	v_add_f64 v[220:221], v[52:53], -v[158:159]
	s_waitcnt vmcnt(32)
	v_add_f64 v[138:139], v[54:55], v[160:161]
	v_add_f64 v[206:207], v[54:55], -v[160:161]
	s_waitcnt vmcnt(22)
	v_add_f64 v[218:219], v[56:57], -v[150:151]
	s_waitcnt vmcnt(20)
	v_add_f64 v[136:137], v[58:59], v[152:153]
	s_waitcnt vmcnt(14)
	v_add_f64 v[154:155], v[12:13], -v[44:45]
	v_add_f64 v[210:211], v[58:59], -v[152:153]
	s_waitcnt vmcnt(6)
	v_add_f64 v[164:165], v[8:9], -v[40:41]
	v_mul_f64 v[88:89], v[220:221], s[46:47]
	s_waitcnt vmcnt(2)
	v_add_f64 v[202:203], v[4:5], -v[36:37]
	s_waitcnt vmcnt(0)
	v_add_f64 v[134:135], v[6:7], v[38:39]
	v_mul_f64 v[90:91], v[218:219], s[28:29]
	v_add_f64 v[132:133], v[10:11], v[42:43]
	v_add_f64 v[200:201], v[52:53], v[158:159]
	;; [unrolled: 1-line block ×3, first 2 shown]
	v_mul_f64 v[98:99], v[164:165], s[44:45]
	v_fma_f64 v[92:93], v[138:139], s[38:39], v[88:89]
	v_mul_f64 v[94:95], v[202:203], s[40:41]
	v_add_f64 v[208:209], v[6:7], -v[38:39]
	v_fma_f64 v[96:97], v[136:137], s[0:1], v[90:91]
	v_mul_f64 v[102:103], v[154:155], s[30:31]
	v_add_f64 v[166:167], v[56:57], v[150:151]
	v_add_f64 v[204:205], v[10:11], -v[42:43]
	v_fma_f64 v[104:105], v[132:133], s[4:5], v[98:99]
	v_add_f64 v[92:93], v[50:51], v[92:93]
	v_fma_f64 v[100:101], v[134:135], s[36:37], v[94:95]
	v_add_f64 v[162:163], v[4:5], v[36:37]
	v_fma_f64 v[88:89], v[138:139], s[38:39], -v[88:89]
	v_fma_f64 v[114:115], v[130:131], s[26:27], v[102:103]
	v_add_f64 v[32:33], v[16:17], -v[78:79]
	v_add_f64 v[86:87], v[14:15], -v[46:47]
	v_add_f64 v[148:149], v[8:9], v[40:41]
	v_add_f64 v[92:93], v[96:97], v[92:93]
	v_mul_f64 v[96:97], v[206:207], s[46:47]
	v_mul_f64 v[120:121], v[204:205], s[44:45]
	v_fma_f64 v[90:91], v[136:137], s[0:1], -v[90:91]
	v_add_f64 v[88:89], v[50:51], v[88:89]
	v_add_f64 v[2:3], v[20:21], -v[82:83]
	v_add_f64 v[128:129], v[18:19], v[80:81]
	v_add_f64 v[60:61], v[18:19], -v[80:81]
	v_add_f64 v[92:93], v[100:101], v[92:93]
	v_mul_f64 v[100:101], v[210:211], s[28:29]
	v_fma_f64 v[106:107], v[200:201], s[38:39], -v[96:97]
	v_fma_f64 v[96:97], v[200:201], s[38:39], v[96:97]
	v_add_f64 v[140:141], v[12:13], v[44:45]
	v_mul_f64 v[112:113], v[32:33], s[34:35]
	v_mul_f64 v[118:119], v[86:87], s[30:31]
	v_fma_f64 v[156:157], v[148:149], s[4:5], -v[120:121]
	v_add_f64 v[92:93], v[104:105], v[92:93]
	v_mul_f64 v[104:105], v[208:209], s[40:41]
	v_fma_f64 v[116:117], v[166:167], s[0:1], -v[100:101]
	v_add_f64 v[106:107], v[48:49], v[106:107]
	v_fma_f64 v[100:101], v[166:167], s[0:1], v[100:101]
	v_add_f64 v[96:97], v[48:49], v[96:97]
	v_fma_f64 v[94:95], v[134:135], s[36:37], -v[94:95]
	v_add_f64 v[88:89], v[90:91], v[88:89]
	v_add_f64 v[92:93], v[114:115], v[92:93]
	v_fma_f64 v[114:115], v[162:163], s[36:37], -v[104:105]
	v_add_f64 v[126:127], v[22:23], v[84:85]
	v_add_f64 v[106:107], v[116:117], v[106:107]
	v_add_f64 v[34:35], v[22:23], -v[84:85]
	v_mul_f64 v[110:111], v[2:3], s[24:25]
	v_fma_f64 v[122:123], v[128:129], s[14:15], v[112:113]
	v_add_f64 v[216:217], v[16:17], v[78:79]
	v_mul_f64 v[90:91], v[60:61], s[34:35]
	v_fma_f64 v[104:105], v[162:163], s[36:37], v[104:105]
	v_add_f64 v[96:97], v[100:101], v[96:97]
	v_add_f64 v[106:107], v[114:115], v[106:107]
	v_fma_f64 v[114:115], v[140:141], s[26:27], -v[118:119]
	v_fma_f64 v[98:99], v[132:133], s[4:5], -v[98:99]
	v_add_f64 v[88:89], v[94:95], v[88:89]
	v_fma_f64 v[116:117], v[126:127], s[22:23], v[110:111]
	v_add_f64 v[92:93], v[122:123], v[92:93]
	v_add_f64 v[214:215], v[20:21], v[82:83]
	v_mul_f64 v[94:95], v[34:35], s[24:25]
	v_add_f64 v[100:101], v[156:157], v[106:107]
	v_fma_f64 v[106:107], v[216:217], s[14:15], -v[90:91]
	v_fma_f64 v[120:121], v[148:149], s[4:5], v[120:121]
	v_add_f64 v[96:97], v[104:105], v[96:97]
	v_fma_f64 v[102:103], v[130:131], s[26:27], -v[102:103]
	v_add_f64 v[88:89], v[98:99], v[88:89]
	v_mul_f64 v[98:99], v[142:143], s[50:51]
	v_fma_f64 v[104:105], v[214:215], s[22:23], -v[94:95]
	v_add_f64 v[100:101], v[114:115], v[100:101]
	v_fma_f64 v[114:115], v[140:141], s[26:27], v[118:119]
	v_add_f64 v[92:93], v[116:117], v[92:93]
	v_add_f64 v[96:97], v[120:121], v[96:97]
	v_mov_b32_e32 v65, v3
	v_add_f64 v[88:89], v[102:103], v[88:89]
	v_fma_f64 v[102:103], v[124:125], s[18:19], v[108:109]
	v_mov_b32_e32 v64, v2
	v_add_f64 v[100:101], v[106:107], v[100:101]
	v_fma_f64 v[106:107], v[128:129], s[14:15], -v[112:113]
	v_fma_f64 v[112:113], v[212:213], s[18:19], -v[98:99]
	v_fma_f64 v[116:117], v[216:217], s[14:15], v[90:91]
	v_add_f64 v[96:97], v[114:115], v[96:97]
	v_mul_f64 v[156:157], v[202:203], s[20:21]
	v_add_f64 v[2:3], v[102:103], v[92:93]
	v_mul_f64 v[102:103], v[220:221], s[40:41]
	v_add_f64 v[100:101], v[104:105], v[100:101]
	v_fma_f64 v[104:105], v[126:127], s[22:23], -v[110:111]
	v_fma_f64 v[92:93], v[214:215], s[22:23], v[94:95]
	v_mul_f64 v[110:111], v[218:219], s[34:35]
	v_add_f64 v[94:95], v[116:117], v[96:97]
	v_mul_f64 v[120:121], v[210:211], s[34:35]
	v_mul_f64 v[224:225], v[164:165], s[54:55]
	v_fma_f64 v[236:237], v[134:135], s[18:19], v[156:157]
	v_add_f64 v[0:1], v[112:113], v[100:101]
	v_fma_f64 v[112:113], v[138:139], s[36:37], v[102:103]
	v_fma_f64 v[102:103], v[138:139], s[36:37], -v[102:103]
	v_fma_f64 v[222:223], v[136:137], s[14:15], v[110:111]
	v_add_f64 v[92:93], v[92:93], v[94:95]
	v_mul_f64 v[94:95], v[206:207], s[40:41]
	v_add_f64 v[106:107], v[106:107], v[88:89]
	v_mul_f64 v[116:117], v[154:155], s[2:3]
	v_mul_f64 v[232:233], v[208:209], s[20:21]
	v_add_f64 v[112:113], v[50:51], v[112:113]
	v_fma_f64 v[234:235], v[166:167], s[14:15], -v[120:121]
	v_fma_f64 v[110:111], v[136:137], s[14:15], -v[110:111]
	v_add_f64 v[102:103], v[50:51], v[102:103]
	v_fma_f64 v[122:123], v[200:201], s[36:37], -v[94:95]
	v_fma_f64 v[94:95], v[200:201], s[36:37], v[94:95]
	v_fma_f64 v[120:121], v[166:167], s[14:15], v[120:121]
	v_add_f64 v[100:101], v[104:105], v[106:107]
	v_add_f64 v[112:113], v[222:223], v[112:113]
	v_fma_f64 v[222:223], v[132:133], s[26:27], v[224:225]
	v_fma_f64 v[106:107], v[212:213], s[18:19], v[98:99]
	v_mul_f64 v[98:99], v[32:33], s[46:47]
	v_fma_f64 v[230:231], v[130:131], s[0:1], v[116:117]
	v_add_f64 v[94:95], v[48:49], v[94:95]
	v_add_f64 v[122:123], v[48:49], v[122:123]
	v_mul_f64 v[238:239], v[204:205], s[54:55]
	v_add_f64 v[112:113], v[236:237], v[112:113]
	v_fma_f64 v[156:157], v[134:135], s[18:19], -v[156:157]
	v_add_f64 v[102:103], v[110:111], v[102:103]
	v_fma_f64 v[118:119], v[128:129], s[38:39], v[98:99]
	v_fma_f64 v[240:241], v[162:163], s[18:19], -v[232:233]
	v_add_f64 v[94:95], v[120:121], v[94:95]
	v_add_f64 v[122:123], v[234:235], v[122:123]
	v_mul_f64 v[234:235], v[86:87], s[2:3]
	v_add_f64 v[110:111], v[222:223], v[112:113]
	v_fma_f64 v[112:113], v[162:163], s[18:19], v[232:233]
	v_add_f64 v[102:103], v[156:157], v[102:103]
	v_fma_f64 v[156:157], v[148:149], s[26:27], v[238:239]
	v_fma_f64 v[236:237], v[148:149], s[26:27], -v[238:239]
	v_mul_f64 v[120:121], v[60:61], s[46:47]
	v_add_f64 v[122:123], v[240:241], v[122:123]
	v_fma_f64 v[96:97], v[124:125], s[18:19], -v[108:109]
	v_add_f64 v[110:111], v[230:231], v[110:111]
	v_add_f64 v[94:95], v[112:113], v[94:95]
	v_fma_f64 v[222:223], v[140:141], s[0:1], -v[234:235]
	v_mul_f64 v[112:113], v[34:35], s[44:45]
	buffer_store_dword v0, off, s[64:67], 0 offset:1168 ; 4-byte Folded Spill
	s_nop 0
	buffer_store_dword v1, off, s[64:67], 0 offset:1172 ; 4-byte Folded Spill
	buffer_store_dword v2, off, s[64:67], 0 offset:1176 ; 4-byte Folded Spill
	buffer_store_dword v3, off, s[64:67], 0 offset:1180 ; 4-byte Folded Spill
	v_fma_f64 v[230:231], v[216:217], s[38:39], -v[120:121]
	v_add_f64 v[122:123], v[236:237], v[122:123]
	v_fma_f64 v[120:121], v[216:217], s[38:39], v[120:121]
	v_add_f64 v[110:111], v[118:119], v[110:111]
	v_fma_f64 v[118:119], v[140:141], s[0:1], v[234:235]
	v_add_f64 v[94:95], v[156:157], v[94:95]
	v_mul_f64 v[104:105], v[64:65], s[44:45]
	v_fma_f64 v[224:225], v[132:133], s[26:27], -v[224:225]
	v_add_f64 v[2:3], v[96:97], v[100:101]
	v_add_f64 v[122:123], v[222:223], v[122:123]
	v_fma_f64 v[222:223], v[214:215], s[4:5], -v[112:113]
	v_fma_f64 v[100:101], v[214:215], s[4:5], v[112:113]
	v_mul_f64 v[108:109], v[62:63], s[24:25]
	v_add_f64 v[94:95], v[118:119], v[94:95]
	v_fma_f64 v[114:115], v[126:127], s[4:5], v[104:105]
	v_fma_f64 v[116:117], v[130:131], s[0:1], -v[116:117]
	v_add_f64 v[102:103], v[224:225], v[102:103]
	v_mul_f64 v[156:157], v[142:143], s[24:25]
	v_add_f64 v[122:123], v[230:231], v[122:123]
	v_add_f64 v[0:1], v[106:107], v[92:93]
	v_fma_f64 v[106:107], v[124:125], s[22:23], -v[108:109]
	v_add_f64 v[112:113], v[120:121], v[94:95]
	v_add_f64 v[110:111], v[114:115], v[110:111]
	v_mul_f64 v[230:231], v[202:203], s[2:3]
	v_add_f64 v[102:103], v[116:117], v[102:103]
	v_fma_f64 v[116:117], v[124:125], s[22:23], v[108:109]
	v_fma_f64 v[114:115], v[212:213], s[22:23], -v[156:157]
	v_add_f64 v[118:119], v[222:223], v[122:123]
	v_fma_f64 v[108:109], v[212:213], s[22:23], v[156:157]
	v_add_f64 v[100:101], v[100:101], v[112:113]
	v_mul_f64 v[112:113], v[220:221], s[30:31]
	v_mul_f64 v[122:123], v[206:207], s[30:31]
	;; [unrolled: 1-line block ×4, first 2 shown]
	buffer_store_dword v0, off, s[64:67], 0 offset:1200 ; 4-byte Folded Spill
	s_nop 0
	buffer_store_dword v1, off, s[64:67], 0 offset:1204 ; 4-byte Folded Spill
	buffer_store_dword v2, off, s[64:67], 0 offset:1208 ; 4-byte Folded Spill
	;; [unrolled: 1-line block ×3, first 2 shown]
	v_add_f64 v[0:1], v[114:115], v[118:119]
	v_mul_f64 v[118:119], v[164:165], s[40:41]
	v_fma_f64 v[242:243], v[134:135], s[0:1], v[230:231]
	v_fma_f64 v[224:225], v[138:139], s[26:27], v[112:113]
	v_fma_f64 v[238:239], v[200:201], s[26:27], -v[122:123]
	v_fma_f64 v[240:241], v[136:137], s[22:23], v[156:157]
	v_fma_f64 v[112:113], v[138:139], s[26:27], -v[112:113]
	v_fma_f64 v[122:123], v[200:201], s[26:27], v[122:123]
	v_mul_f64 v[244:245], v[208:209], s[2:3]
	v_fma_f64 v[246:247], v[166:167], s[22:23], -v[236:237]
	v_fma_f64 v[156:157], v[136:137], s[22:23], -v[156:157]
	v_add_f64 v[224:225], v[50:51], v[224:225]
	v_add_f64 v[238:239], v[48:49], v[238:239]
	v_fma_f64 v[236:237], v[166:167], s[22:23], v[236:237]
	v_add_f64 v[112:113], v[50:51], v[112:113]
	v_add_f64 v[122:123], v[48:49], v[122:123]
	v_fma_f64 v[98:99], v[128:129], s[38:39], -v[98:99]
	v_add_f64 v[2:3], v[116:117], v[110:111]
	v_mul_f64 v[116:117], v[154:155], s[50:51]
	v_add_f64 v[224:225], v[240:241], v[224:225]
	v_fma_f64 v[234:235], v[132:133], s[36:37], v[118:119]
	v_mul_f64 v[240:241], v[204:205], s[40:41]
	v_fma_f64 v[248:249], v[162:163], s[0:1], -v[244:245]
	v_add_f64 v[238:239], v[246:247], v[238:239]
	v_fma_f64 v[230:231], v[134:135], s[0:1], -v[230:231]
	v_add_f64 v[112:113], v[156:157], v[112:113]
	v_add_f64 v[122:123], v[236:237], v[122:123]
	;; [unrolled: 1-line block ×3, first 2 shown]
	v_fma_f64 v[224:225], v[162:163], s[0:1], v[244:245]
	v_fma_f64 v[104:105], v[126:127], s[4:5], -v[104:105]
	v_add_f64 v[102:103], v[98:99], v[102:103]
	v_mul_f64 v[110:111], v[32:33], s[12:13]
	v_fma_f64 v[232:233], v[130:131], s[18:19], v[116:117]
	v_mul_f64 v[236:237], v[86:87], s[50:51]
	v_fma_f64 v[242:243], v[148:149], s[36:37], -v[240:241]
	v_add_f64 v[238:239], v[248:249], v[238:239]
	v_fma_f64 v[118:119], v[132:133], s[36:37], -v[118:119]
	v_add_f64 v[112:113], v[230:231], v[112:113]
	v_add_f64 v[156:157], v[234:235], v[156:157]
	v_fma_f64 v[230:231], v[148:149], s[36:37], v[240:241]
	v_add_f64 v[122:123], v[224:225], v[122:123]
	v_add_f64 v[102:103], v[104:105], v[102:103]
	v_mul_f64 v[104:105], v[64:65], s[46:47]
	v_fma_f64 v[222:223], v[128:129], s[4:5], v[110:111]
	v_mul_f64 v[224:225], v[60:61], s[12:13]
	v_fma_f64 v[234:235], v[140:141], s[18:19], -v[236:237]
	v_add_f64 v[238:239], v[242:243], v[238:239]
	v_fma_f64 v[116:117], v[130:131], s[18:19], -v[116:117]
	v_add_f64 v[112:113], v[118:119], v[112:113]
	v_add_f64 v[118:119], v[232:233], v[156:157]
	v_fma_f64 v[156:157], v[140:141], s[18:19], v[236:237]
	v_add_f64 v[122:123], v[230:231], v[122:123]
	v_mul_f64 v[114:115], v[62:63], s[34:35]
	v_fma_f64 v[120:121], v[126:127], s[38:39], v[104:105]
	v_mul_f64 v[230:231], v[34:35], s[46:47]
	v_fma_f64 v[232:233], v[216:217], s[4:5], -v[224:225]
	v_add_f64 v[234:235], v[234:235], v[238:239]
	v_fma_f64 v[110:111], v[128:129], s[4:5], -v[110:111]
	v_add_f64 v[112:113], v[116:117], v[112:113]
	v_add_f64 v[116:117], v[222:223], v[118:119]
	v_fma_f64 v[118:119], v[216:217], s[4:5], v[224:225]
	v_add_f64 v[122:123], v[156:157], v[122:123]
	v_mul_f64 v[156:157], v[142:143], s[34:35]
	v_fma_f64 v[222:223], v[214:215], s[38:39], -v[230:231]
	v_add_f64 v[224:225], v[232:233], v[234:235]
	v_fma_f64 v[104:105], v[126:127], s[38:39], -v[104:105]
	v_add_f64 v[110:111], v[110:111], v[112:113]
	v_fma_f64 v[112:113], v[124:125], s[14:15], v[114:115]
	v_fma_f64 v[230:231], v[214:215], s[38:39], v[230:231]
	v_add_f64 v[118:119], v[118:119], v[122:123]
	v_add_f64 v[116:117], v[120:121], v[116:117]
	v_fma_f64 v[120:121], v[212:213], s[14:15], -v[156:157]
	v_add_f64 v[122:123], v[222:223], v[224:225]
	v_fma_f64 v[114:115], v[124:125], s[14:15], -v[114:115]
	v_add_f64 v[110:111], v[104:105], v[110:111]
	v_add_f64 v[102:103], v[106:107], v[102:103]
	v_fma_f64 v[156:157], v[212:213], s[14:15], v[156:157]
	v_add_f64 v[118:119], v[230:231], v[118:119]
	v_mul_f64 v[222:223], v[220:221], s[24:25]
	v_add_f64 v[106:107], v[112:113], v[116:117]
	v_mul_f64 v[116:117], v[206:207], s[24:25]
	v_add_f64 v[100:101], v[108:109], v[100:101]
	v_add_f64 v[110:111], v[114:115], v[110:111]
	v_mul_f64 v[114:115], v[218:219], s[48:49]
	v_mul_f64 v[232:233], v[210:211], s[48:49]
	v_add_f64 v[108:109], v[156:157], v[118:119]
	v_fma_f64 v[118:119], v[138:139], s[22:23], v[222:223]
	v_mul_f64 v[156:157], v[202:203], s[44:45]
	v_fma_f64 v[234:235], v[200:201], s[22:23], -v[116:117]
	v_fma_f64 v[222:223], v[138:139], s[22:23], -v[222:223]
	v_mul_f64 v[242:243], v[208:209], s[44:45]
	v_fma_f64 v[230:231], v[136:137], s[36:37], v[114:115]
	v_fma_f64 v[244:245], v[166:167], s[36:37], -v[232:233]
	buffer_store_dword v0, off, s[64:67], 0 offset:1184 ; 4-byte Folded Spill
	s_nop 0
	buffer_store_dword v1, off, s[64:67], 0 offset:1188 ; 4-byte Folded Spill
	buffer_store_dword v2, off, s[64:67], 0 offset:1192 ; 4-byte Folded Spill
	;; [unrolled: 1-line block ×3, first 2 shown]
	v_add_f64 v[118:119], v[50:51], v[118:119]
	v_mul_f64 v[238:239], v[164:165], s[16:17]
	v_add_f64 v[234:235], v[48:49], v[234:235]
	v_fma_f64 v[240:241], v[134:135], s[4:5], v[156:157]
	v_fma_f64 v[114:115], v[136:137], s[36:37], -v[114:115]
	v_add_f64 v[222:223], v[50:51], v[222:223]
	v_mul_f64 v[248:249], v[204:205], s[16:17]
	buffer_store_dword v254, off, s[64:67], 0 offset:1160 ; 4-byte Folded Spill
	v_add_f64 v[118:119], v[230:231], v[118:119]
	v_mov_b32_e32 v254, v250
	buffer_store_dword v251, off, s[64:67], 0 offset:1152 ; 4-byte Folded Spill
	v_fma_f64 v[250:251], v[162:163], s[4:5], -v[242:243]
	v_add_f64 v[234:235], v[244:245], v[234:235]
	v_mul_f64 v[230:231], v[154:155], s[46:47]
	v_fma_f64 v[246:247], v[132:133], s[14:15], v[238:239]
	v_fma_f64 v[156:157], v[134:135], s[4:5], -v[156:157]
	v_add_f64 v[118:119], v[240:241], v[118:119]
	v_fma_f64 v[116:117], v[200:201], s[22:23], v[116:117]
	v_add_f64 v[114:115], v[114:115], v[222:223]
	v_mul_f64 v[222:223], v[86:87], s[46:47]
	v_fma_f64 v[244:245], v[148:149], s[14:15], -v[248:249]
	v_add_f64 v[234:235], v[250:251], v[234:235]
	v_mov_b32_e32 v93, v33
	v_mov_b32_e32 v92, v32
	v_add_f64 v[104:105], v[120:121], v[122:123]
	v_mul_f64 v[120:121], v[92:93], s[50:51]
	v_fma_f64 v[240:241], v[130:131], s[38:39], v[230:231]
	v_add_f64 v[118:119], v[246:247], v[118:119]
	v_fma_f64 v[238:239], v[132:133], s[14:15], -v[238:239]
	v_fma_f64 v[232:233], v[166:167], s[36:37], v[232:233]
	v_add_f64 v[116:117], v[48:49], v[116:117]
	v_add_f64 v[114:115], v[156:157], v[114:115]
	v_mul_f64 v[156:157], v[60:61], s[50:51]
	v_fma_f64 v[246:247], v[140:141], s[38:39], -v[222:223]
	v_add_f64 v[234:235], v[244:245], v[234:235]
	v_mov_b32_e32 v97, v65
	v_mov_b32_e32 v96, v64
	;; [unrolled: 1-line block ×4, first 2 shown]
	v_mul_f64 v[112:113], v[96:97], s[2:3]
	v_fma_f64 v[236:237], v[128:129], s[18:19], v[120:121]
	v_add_f64 v[118:119], v[240:241], v[118:119]
	v_fma_f64 v[230:231], v[130:131], s[38:39], -v[230:231]
	v_fma_f64 v[240:241], v[162:163], s[4:5], v[242:243]
	v_add_f64 v[116:117], v[232:233], v[116:117]
	v_add_f64 v[114:115], v[238:239], v[114:115]
	v_mul_f64 v[232:233], v[64:65], s[2:3]
	v_fma_f64 v[238:239], v[216:217], s[18:19], -v[156:157]
	v_add_f64 v[234:235], v[246:247], v[234:235]
	v_fma_f64 v[224:225], v[126:127], s[0:1], v[112:113]
	v_add_f64 v[118:119], v[236:237], v[118:119]
	v_fma_f64 v[120:121], v[128:129], s[18:19], -v[120:121]
	v_fma_f64 v[236:237], v[148:149], s[14:15], v[248:249]
	v_add_f64 v[116:117], v[240:241], v[116:117]
	v_add_f64 v[114:115], v[230:231], v[114:115]
	v_mul_f64 v[230:231], v[142:143], s[30:31]
	v_fma_f64 v[240:241], v[214:215], s[0:1], -v[232:233]
	v_add_f64 v[234:235], v[238:239], v[234:235]
	v_mov_b32_e32 v95, v63
	v_mov_b32_e32 v94, v62
	v_mul_f64 v[122:123], v[94:95], s[30:31]
	v_fma_f64 v[112:113], v[126:127], s[0:1], -v[112:113]
	v_fma_f64 v[222:223], v[140:141], s[38:39], v[222:223]
	v_add_f64 v[116:117], v[236:237], v[116:117]
	v_add_f64 v[114:115], v[120:121], v[114:115]
	;; [unrolled: 1-line block ×3, first 2 shown]
	v_fma_f64 v[120:121], v[212:213], s[26:27], -v[230:231]
	v_add_f64 v[224:225], v[240:241], v[234:235]
	v_fma_f64 v[238:239], v[124:125], s[26:27], v[122:123]
	v_fma_f64 v[122:123], v[124:125], s[26:27], -v[122:123]
	v_mul_f64 v[234:235], v[220:221], s[20:21]
	v_add_f64 v[116:117], v[222:223], v[116:117]
	v_add_f64 v[222:223], v[112:113], v[114:115]
	v_fma_f64 v[156:157], v[216:217], s[18:19], v[156:157]
	v_mul_f64 v[236:237], v[218:219], s[46:47]
	v_add_f64 v[112:113], v[120:121], v[224:225]
	v_mul_f64 v[120:121], v[206:207], s[20:21]
	v_add_f64 v[114:115], v[238:239], v[118:119]
	v_fma_f64 v[224:225], v[138:139], s[18:19], v[234:235]
	v_fma_f64 v[232:233], v[214:215], s[0:1], v[232:233]
	v_add_f64 v[118:119], v[122:123], v[222:223]
	v_mul_f64 v[222:223], v[210:211], s[46:47]
	v_add_f64 v[116:117], v[156:157], v[116:117]
	v_mul_f64 v[122:123], v[202:203], s[42:43]
	v_fma_f64 v[238:239], v[200:201], s[18:19], -v[120:121]
	v_fma_f64 v[156:157], v[136:137], s[38:39], v[236:237]
	v_add_f64 v[224:225], v[50:51], v[224:225]
	v_mul_f64 v[242:243], v[208:209], s[42:43]
	v_mul_f64 v[250:251], v[204:205], s[28:29]
	v_fma_f64 v[244:245], v[166:167], s[38:39], -v[222:223]
	v_add_f64 v[116:117], v[232:233], v[116:117]
	v_mul_f64 v[232:233], v[164:165], s[28:29]
	v_add_f64 v[238:239], v[48:49], v[238:239]
	v_fma_f64 v[240:241], v[134:135], s[22:23], v[122:123]
	v_add_f64 v[156:157], v[156:157], v[224:225]
	v_fma_f64 v[252:253], v[162:163], s[22:23], -v[242:243]
	v_fma_f64 v[234:235], v[138:139], s[18:19], -v[234:235]
	v_mul_f64 v[246:247], v[154:155], s[16:17]
	v_mul_f64 v[226:227], v[86:87], s[16:17]
	v_fma_f64 v[248:249], v[132:133], s[0:1], v[232:233]
	v_add_f64 v[238:239], v[244:245], v[238:239]
	v_fma_f64 v[228:229], v[148:149], s[0:1], -v[250:251]
	v_add_f64 v[156:157], v[240:241], v[156:157]
	v_fma_f64 v[236:237], v[136:137], s[38:39], -v[236:237]
	v_add_f64 v[234:235], v[50:51], v[234:235]
	v_mul_f64 v[240:241], v[92:93], s[40:41]
	v_fma_f64 v[244:245], v[130:131], s[14:15], v[246:247]
	v_mul_f64 v[0:1], v[60:61], s[40:41]
	v_add_f64 v[238:239], v[252:253], v[238:239]
	v_fma_f64 v[2:3], v[140:141], s[14:15], -v[226:227]
	v_add_f64 v[156:157], v[248:249], v[156:157]
	v_fma_f64 v[122:123], v[134:135], s[22:23], -v[122:123]
	v_add_f64 v[234:235], v[236:237], v[234:235]
	v_mul_f64 v[248:249], v[96:97], s[54:55]
	v_fma_f64 v[252:253], v[128:129], s[36:37], v[240:241]
	v_fma_f64 v[232:233], v[132:133], s[0:1], -v[232:233]
	v_add_f64 v[228:229], v[228:229], v[238:239]
	v_mul_f64 v[238:239], v[64:65], s[54:55]
	v_add_f64 v[156:157], v[244:245], v[156:157]
	v_fma_f64 v[244:245], v[216:217], s[36:37], -v[0:1]
	v_fma_f64 v[120:121], v[200:201], s[18:19], v[120:121]
	v_add_f64 v[122:123], v[122:123], v[234:235]
	v_mul_f64 v[224:225], v[94:95], s[44:45]
	v_fma_f64 v[236:237], v[126:127], s[26:27], v[248:249]
	v_add_f64 v[2:3], v[2:3], v[228:229]
	v_mul_f64 v[228:229], v[142:143], s[44:45]
	v_add_f64 v[156:157], v[252:253], v[156:157]
	v_fma_f64 v[234:235], v[214:215], s[26:27], -v[238:239]
	v_fma_f64 v[246:247], v[130:131], s[14:15], -v[246:247]
	v_fma_f64 v[222:223], v[166:167], s[38:39], v[222:223]
	v_add_f64 v[120:121], v[48:49], v[120:121]
	v_add_f64 v[122:123], v[232:233], v[122:123]
	;; [unrolled: 1-line block ×3, first 2 shown]
	v_fma_f64 v[230:231], v[212:213], s[26:27], v[230:231]
	v_fma_f64 v[232:233], v[124:125], s[4:5], v[224:225]
	v_add_f64 v[156:157], v[236:237], v[156:157]
	v_fma_f64 v[236:237], v[212:213], s[4:5], -v[228:229]
	v_fma_f64 v[240:241], v[128:129], s[36:37], -v[240:241]
	v_fma_f64 v[242:243], v[162:163], s[22:23], v[242:243]
	v_add_f64 v[120:121], v[222:223], v[120:121]
	v_add_f64 v[222:223], v[246:247], v[122:123]
	;; [unrolled: 1-line block ×5, first 2 shown]
	v_fma_f64 v[156:157], v[126:127], s[26:27], -v[248:249]
	v_fma_f64 v[230:231], v[148:149], s[0:1], v[250:251]
	v_mul_f64 v[232:233], v[220:221], s[16:17]
	v_add_f64 v[234:235], v[242:243], v[120:121]
	v_add_f64 v[222:223], v[240:241], v[222:223]
	;; [unrolled: 1-line block ×3, first 2 shown]
	v_mul_f64 v[236:237], v[206:207], s[16:17]
	v_fma_f64 v[2:3], v[124:125], s[4:5], -v[224:225]
	v_fma_f64 v[224:225], v[140:141], s[14:15], v[226:227]
	v_mul_f64 v[226:227], v[218:219], s[30:31]
	v_fma_f64 v[240:241], v[138:139], s[14:15], v[232:233]
	v_add_f64 v[230:231], v[230:231], v[234:235]
	v_add_f64 v[156:157], v[156:157], v[222:223]
	v_mul_f64 v[234:235], v[210:211], s[30:31]
	v_fma_f64 v[222:223], v[200:201], s[14:15], -v[236:237]
	v_fma_f64 v[0:1], v[216:217], s[36:37], v[0:1]
	v_mul_f64 v[242:243], v[202:203], s[52:53]
	v_fma_f64 v[244:245], v[136:137], s[26:27], v[226:227]
	v_add_f64 v[240:241], v[50:51], v[240:241]
	v_add_f64 v[224:225], v[224:225], v[230:231]
	v_fma_f64 v[230:231], v[214:215], s[26:27], v[238:239]
	v_mul_f64 v[238:239], v[208:209], s[52:53]
	v_fma_f64 v[246:247], v[166:167], s[26:27], -v[234:235]
	v_add_f64 v[222:223], v[48:49], v[222:223]
	v_mul_f64 v[248:249], v[164:165], s[42:43]
	v_fma_f64 v[250:251], v[134:135], s[38:39], v[242:243]
	v_add_f64 v[240:241], v[244:245], v[240:241]
	v_add_f64 v[0:1], v[0:1], v[224:225]
	v_mul_f64 v[244:245], v[204:205], s[42:43]
	v_fma_f64 v[224:225], v[162:163], s[38:39], -v[238:239]
	v_fma_f64 v[232:233], v[138:139], s[14:15], -v[232:233]
	v_add_f64 v[222:223], v[246:247], v[222:223]
	v_mov_b32_e32 v99, v61
	v_mov_b32_e32 v98, v60
	;; [unrolled: 1-line block ×3, first 2 shown]
	v_mul_f64 v[246:247], v[154:155], s[44:45]
	v_fma_f64 v[252:253], v[132:133], s[22:23], v[248:249]
	v_add_f64 v[240:241], v[250:251], v[240:241]
	v_mul_f64 v[250:251], v[86:87], s[44:45]
	v_mov_b32_e32 v62, v6
	v_mov_b32_e32 v61, v5
	;; [unrolled: 1-line block ×3, first 2 shown]
	v_fma_f64 v[4:5], v[148:149], s[22:23], -v[244:245]
	v_fma_f64 v[6:7], v[136:137], s[26:27], -v[226:227]
	v_add_f64 v[226:227], v[50:51], v[232:233]
	v_add_f64 v[222:223], v[224:225], v[222:223]
	v_mul_f64 v[224:225], v[92:93], s[2:3]
	v_fma_f64 v[232:233], v[130:131], s[4:5], v[246:247]
	v_add_f64 v[240:241], v[252:253], v[240:241]
	v_mul_f64 v[252:253], v[98:99], s[2:3]
	v_fma_f64 v[8:9], v[140:141], s[4:5], -v[250:251]
	v_fma_f64 v[10:11], v[134:135], s[38:39], -v[242:243]
	v_add_f64 v[6:7], v[6:7], v[226:227]
	v_add_f64 v[4:5], v[4:5], v[222:223]
	v_mul_f64 v[226:227], v[96:97], s[20:21]
	v_fma_f64 v[222:223], v[128:129], s[0:1], v[224:225]
	v_add_f64 v[232:233], v[232:233], v[240:241]
	v_mul_f64 v[240:241], v[64:65], s[20:21]
	;; [unrolled: 8-line block ×3, first 2 shown]
	v_fma_f64 v[14:15], v[214:215], s[18:19], -v[240:241]
	v_fma_f64 v[232:233], v[130:131], s[4:5], -v[246:247]
	v_add_f64 v[6:7], v[248:249], v[6:7]
	v_add_f64 v[4:5], v[242:243], v[4:5]
	v_fma_f64 v[228:229], v[212:213], s[4:5], v[228:229]
	v_add_f64 v[0:1], v[230:231], v[0:1]
	v_fma_f64 v[230:231], v[124:125], s[36:37], v[8:9]
	v_add_f64 v[10:11], v[10:11], v[222:223]
	v_fma_f64 v[242:243], v[212:213], s[36:37], -v[12:13]
	v_fma_f64 v[246:247], v[128:129], s[0:1], -v[224:225]
	v_add_f64 v[6:7], v[232:233], v[6:7]
	v_add_f64 v[4:5], v[14:15], v[4:5]
	;; [unrolled: 1-line block ×4, first 2 shown]
	v_fma_f64 v[0:1], v[200:201], s[14:15], v[236:237]
	v_add_f64 v[232:233], v[230:231], v[10:11]
	v_fma_f64 v[2:3], v[126:127], s[18:19], -v[226:227]
	v_mul_f64 v[10:11], v[220:221], s[12:13]
	v_add_f64 v[6:7], v[246:247], v[6:7]
	v_add_f64 v[230:231], v[242:243], v[4:5]
	v_fma_f64 v[4:5], v[166:167], s[26:27], v[234:235]
	v_mul_f64 v[156:157], v[218:219], s[20:21]
	v_add_f64 v[0:1], v[48:49], v[0:1]
	v_mul_f64 v[14:15], v[206:207], s[12:13]
	v_mul_f64 v[228:229], v[210:211], s[20:21]
	v_fma_f64 v[226:227], v[138:139], s[4:5], v[10:11]
	v_add_f64 v[2:3], v[2:3], v[6:7]
	v_fma_f64 v[6:7], v[162:163], s[38:39], v[238:239]
	v_fma_f64 v[238:239], v[148:149], s[22:23], v[244:245]
	;; [unrolled: 1-line block ×3, first 2 shown]
	v_add_f64 v[0:1], v[4:5], v[0:1]
	v_mul_f64 v[4:5], v[202:203], s[30:31]
	v_fma_f64 v[234:235], v[200:201], s[4:5], -v[14:15]
	v_add_f64 v[226:227], v[50:51], v[226:227]
	v_mul_f64 v[242:243], v[208:209], s[30:31]
	v_fma_f64 v[244:245], v[166:167], s[18:19], -v[228:229]
	v_fma_f64 v[8:9], v[124:125], s[36:37], -v[8:9]
	v_mul_f64 v[248:249], v[204:205], s[46:47]
	v_add_f64 v[0:1], v[6:7], v[0:1]
	v_fma_f64 v[246:247], v[134:135], s[26:27], v[4:5]
	v_add_f64 v[234:235], v[48:49], v[234:235]
	v_add_f64 v[226:227], v[236:237], v[226:227]
	v_fma_f64 v[236:237], v[140:141], s[4:5], v[250:251]
	v_mul_f64 v[6:7], v[164:165], s[46:47]
	v_fma_f64 v[250:251], v[162:163], s[26:27], -v[242:243]
	v_fma_f64 v[10:11], v[138:139], s[4:5], -v[10:11]
	v_add_f64 v[0:1], v[238:239], v[0:1]
	v_mul_f64 v[238:239], v[154:155], s[48:49]
	v_add_f64 v[234:235], v[244:245], v[234:235]
	v_add_f64 v[226:227], v[246:247], v[226:227]
	v_fma_f64 v[246:247], v[216:217], s[0:1], v[252:253]
	v_fma_f64 v[244:245], v[132:133], s[38:39], v[6:7]
	v_fma_f64 v[16:17], v[148:149], s[38:39], -v[248:249]
	v_add_f64 v[10:11], v[50:51], v[10:11]
	v_add_f64 v[0:1], v[236:237], v[0:1]
	v_fma_f64 v[236:237], v[214:215], s[18:19], v[240:241]
	v_add_f64 v[18:19], v[250:251], v[234:235]
	v_mul_f64 v[250:251], v[92:93], s[42:43]
	v_fma_f64 v[234:235], v[130:131], s[36:37], v[238:239]
	v_add_f64 v[226:227], v[244:245], v[226:227]
	v_fma_f64 v[4:5], v[134:135], s[26:27], -v[4:5]
	v_mov_b32_e32 v35, v31
	v_add_f64 v[0:1], v[246:247], v[0:1]
	v_mov_b32_e32 v34, v30
	v_add_f64 v[16:17], v[16:17], v[18:19]
	v_mul_f64 v[18:19], v[96:97], s[34:35]
	v_fma_f64 v[246:247], v[128:129], s[22:23], v[250:251]
	v_add_f64 v[226:227], v[234:235], v[226:227]
	v_mov_b32_e32 v33, v29
	v_mov_b32_e32 v32, v28
	v_add_f64 v[0:1], v[236:237], v[0:1]
	v_add_f64 v[236:237], v[8:9], v[2:3]
	v_fma_f64 v[8:9], v[136:137], s[18:19], -v[156:157]
	v_mov_b32_e32 v31, v27
	v_mov_b32_e32 v30, v26
	v_mov_b32_e32 v29, v25
	v_mov_b32_e32 v28, v24
	v_fma_f64 v[24:25], v[126:127], s[14:15], v[18:19]
	v_add_f64 v[26:27], v[246:247], v[226:227]
	v_fma_f64 v[6:7], v[132:133], s[38:39], -v[6:7]
	v_add_f64 v[8:9], v[8:9], v[10:11]
	v_add_f64 v[54:55], v[50:51], v[54:55]
	;; [unrolled: 1-line block ×3, first 2 shown]
	v_mul_f64 v[252:253], v[86:87], s[48:49]
	v_mul_f64 v[240:241], v[98:99], s[42:43]
	v_fma_f64 v[10:11], v[128:129], s[22:23], -v[250:251]
	v_add_f64 v[2:3], v[24:25], v[26:27]
	v_fma_f64 v[26:27], v[130:131], s[36:37], -v[238:239]
	v_add_f64 v[4:5], v[4:5], v[8:9]
	v_add_f64 v[54:55], v[54:55], v[58:59]
	;; [unrolled: 1-line block ×3, first 2 shown]
	v_fma_f64 v[244:245], v[140:141], s[36:37], -v[252:253]
	v_mov_b32_e32 v91, v23
	v_mov_b32_e32 v90, v22
	v_mov_b32_e32 v89, v21
	v_mov_b32_e32 v88, v20
	v_add_f64 v[4:5], v[6:7], v[4:5]
	v_add_f64 v[54:55], v[54:55], v[62:63]
	v_add_f64 v[52:53], v[52:53], v[60:61]
	v_mul_f64 v[20:21], v[64:65], s[34:35]
	v_fma_f64 v[22:23], v[216:217], s[22:23], -v[240:241]
	v_add_f64 v[16:17], v[244:245], v[16:17]
	v_mul_f64 v[244:245], v[94:95], s[28:29]
	v_fma_f64 v[18:19], v[126:127], s[14:15], -v[18:19]
	v_add_f64 v[4:5], v[26:27], v[4:5]
	v_add_f64 v[54:55], v[54:55], v[72:73]
	;; [unrolled: 1-line block ×3, first 2 shown]
	v_fma_f64 v[246:247], v[214:215], s[14:15], -v[20:21]
	v_fma_f64 v[14:15], v[200:201], s[4:5], v[14:15]
	v_add_f64 v[16:17], v[22:23], v[16:17]
	v_fma_f64 v[22:23], v[124:125], s[0:1], -v[244:245]
	v_mul_f64 v[24:25], v[220:221], s[2:3]
	v_add_f64 v[4:5], v[10:11], v[4:5]
	v_fma_f64 v[156:157], v[166:167], s[18:19], v[228:229]
	v_mul_f64 v[218:219], v[218:219], s[12:13]
	v_fma_f64 v[8:9], v[162:163], s[26:27], v[242:243]
	v_add_f64 v[14:15], v[48:49], v[14:15]
	v_mul_f64 v[62:63], v[206:207], s[2:3]
	v_fma_f64 v[6:7], v[148:149], s[38:39], v[248:249]
	v_fma_f64 v[220:221], v[138:139], s[0:1], v[24:25]
	v_add_f64 v[4:5], v[18:19], v[4:5]
	v_fma_f64 v[18:19], v[214:215], s[14:15], v[20:21]
	v_add_f64 v[20:21], v[54:55], v[76:77]
	v_add_f64 v[54:55], v[52:53], v[74:75]
	;; [unrolled: 1-line block ×3, first 2 shown]
	v_mul_f64 v[156:157], v[202:203], s[16:17]
	v_fma_f64 v[202:203], v[136:137], s[4:5], v[218:219]
	v_add_f64 v[220:221], v[50:51], v[220:221]
	v_add_f64 v[52:53], v[22:23], v[4:5]
	v_fma_f64 v[24:25], v[138:139], s[0:1], -v[24:25]
	v_add_f64 v[20:21], v[20:21], v[170:171]
	v_add_f64 v[22:23], v[54:55], v[168:169]
	;; [unrolled: 1-line block ×3, first 2 shown]
	v_mul_f64 v[14:15], v[164:165], s[20:21]
	v_fma_f64 v[56:57], v[134:135], s[14:15], v[156:157]
	v_add_f64 v[58:59], v[202:203], v[220:221]
	v_mul_f64 v[70:71], v[210:211], s[12:13]
	v_fma_f64 v[72:73], v[200:201], s[0:1], v[62:63]
	v_add_f64 v[20:21], v[20:21], v[90:91]
	v_add_f64 v[22:23], v[22:23], v[88:89]
	v_fma_f64 v[12:13], v[212:213], s[36:37], v[12:13]
	v_mul_f64 v[226:227], v[142:143], s[28:29]
	v_fma_f64 v[26:27], v[140:141], s[36:37], v[252:253]
	v_add_f64 v[6:7], v[6:7], v[8:9]
	v_mul_f64 v[8:9], v[154:155], s[24:25]
	v_fma_f64 v[60:61], v[132:133], s[18:19], v[14:15]
	v_add_f64 v[20:21], v[20:21], v[30:31]
	v_add_f64 v[22:23], v[22:23], v[28:29]
	;; [unrolled: 1-line block ×3, first 2 shown]
	v_mul_f64 v[74:75], v[208:209], s[16:17]
	v_fma_f64 v[62:63], v[200:201], s[0:1], -v[62:63]
	v_fma_f64 v[76:77], v[136:137], s[4:5], -v[218:219]
	v_add_f64 v[24:25], v[50:51], v[24:25]
	v_fma_f64 v[50:51], v[166:167], s[4:5], v[70:71]
	v_add_f64 v[20:21], v[20:21], v[34:35]
	v_add_f64 v[22:23], v[22:23], v[32:33]
	;; [unrolled: 1-line block ×4, first 2 shown]
	v_fma_f64 v[12:13], v[212:213], s[0:1], -v[226:227]
	v_fma_f64 v[4:5], v[212:213], s[0:1], v[226:227]
	v_mov_b32_e32 v229, v69
	v_add_f64 v[6:7], v[26:27], v[6:7]
	v_mul_f64 v[26:27], v[92:93], s[30:31]
	v_fma_f64 v[58:59], v[130:131], s[22:23], v[8:9]
	v_add_f64 v[56:57], v[60:61], v[56:57]
	v_mov_b32_e32 v228, v68
	v_mov_b32_e32 v227, v67
	;; [unrolled: 1-line block ×3, first 2 shown]
	v_mul_f64 v[68:69], v[204:205], s[20:21]
	v_add_f64 v[48:49], v[48:49], v[62:63]
	v_fma_f64 v[62:63], v[134:135], s[14:15], -v[156:157]
	v_add_f64 v[24:25], v[76:77], v[24:25]
	v_fma_f64 v[76:77], v[162:163], s[14:15], v[74:75]
	v_add_f64 v[20:21], v[20:21], v[84:85]
	v_add_f64 v[22:23], v[22:23], v[82:83]
	;; [unrolled: 1-line block ×3, first 2 shown]
	v_fma_f64 v[60:61], v[128:129], s[26:27], v[26:27]
	v_add_f64 v[56:57], v[58:59], v[56:57]
	v_mul_f64 v[66:67], v[86:87], s[24:25]
	v_fma_f64 v[14:15], v[132:133], s[18:19], -v[14:15]
	v_add_f64 v[24:25], v[62:63], v[24:25]
	v_fma_f64 v[62:63], v[148:149], s[18:19], v[68:69]
	v_add_f64 v[20:21], v[20:21], v[80:81]
	v_add_f64 v[22:23], v[22:23], v[78:79]
	v_add_f64 v[50:51], v[76:77], v[50:51]
	v_fma_f64 v[0:1], v[124:125], s[0:1], v[244:245]
	v_add_f64 v[56:57], v[60:61], v[56:57]
	v_mul_f64 v[60:61], v[64:65], s[40:41]
	v_mul_f64 v[64:65], v[98:99], s[30:31]
	v_fma_f64 v[8:9], v[130:131], s[22:23], -v[8:9]
	v_add_f64 v[14:15], v[14:15], v[24:25]
	v_fma_f64 v[24:25], v[140:141], s[22:23], v[66:67]
	v_add_f64 v[20:21], v[20:21], v[46:47]
	v_add_f64 v[22:23], v[22:23], v[44:45]
	;; [unrolled: 1-line block ×3, first 2 shown]
	buffer_load_dword v251, off, s[64:67], 0 offset:1152 ; 4-byte Folded Reload
	v_mov_b32_e32 v250, v254
	buffer_load_dword v254, off, s[64:67], 0 offset:1160 ; 4-byte Folded Reload
	buffer_load_dword v44, off, s[64:67], 0 offset:1136 ; 4-byte Folded Reload
	buffer_load_dword v45, off, s[64:67], 0 offset:1140 ; 4-byte Folded Reload
	buffer_load_dword v46, off, s[64:67], 0 offset:1144 ; 4-byte Folded Reload
	buffer_load_dword v47, off, s[64:67], 0 offset:1148 ; 4-byte Folded Reload
	v_add_f64 v[8:9], v[8:9], v[14:15]
	v_fma_f64 v[14:15], v[216:217], s[26:27], v[64:65]
	v_add_f64 v[20:21], v[20:21], v[42:43]
	v_add_f64 v[22:23], v[22:23], v[40:41]
	buffer_load_dword v40, off, s[64:67], 0 offset:612 ; 4-byte Folded Reload
	buffer_load_dword v41, off, s[64:67], 0 offset:616 ; 4-byte Folded Reload
	;; [unrolled: 1-line block ×4, first 2 shown]
	v_add_f64 v[24:25], v[24:25], v[50:51]
	v_fma_f64 v[50:51], v[216:217], s[26:27], -v[64:65]
	v_add_f64 v[64:65], v[0:1], v[2:3]
	buffer_load_dword v0, off, s[64:67], 0 offset:1132 ; 4-byte Folded Reload
	v_fma_f64 v[70:71], v[166:167], s[4:5], -v[70:71]
	v_fma_f64 v[72:73], v[162:163], s[14:15], -v[74:75]
	v_fma_f64 v[10:11], v[216:217], s[22:23], v[240:241]
	v_fma_f64 v[68:69], v[148:149], s[18:19], -v[68:69]
	v_fma_f64 v[62:63], v[140:141], s[22:23], -v[66:67]
	;; [unrolled: 1-line block ×3, first 2 shown]
	v_add_f64 v[20:21], v[20:21], v[38:39]
	v_add_f64 v[22:23], v[22:23], v[36:37]
	;; [unrolled: 1-line block ×3, first 2 shown]
	v_mul_f64 v[58:59], v[142:143], s[46:47]
	v_add_f64 v[6:7], v[10:11], v[6:7]
	v_mul_f64 v[10:11], v[96:97], s[40:41]
	v_add_f64 v[14:15], v[14:15], v[24:25]
	v_add_f64 v[8:9], v[26:27], v[8:9]
	v_fma_f64 v[26:27], v[214:215], s[36:37], v[60:61]
	v_add_f64 v[20:21], v[20:21], v[152:153]
	v_add_f64 v[48:49], v[72:73], v[48:49]
	;; [unrolled: 1-line block ×4, first 2 shown]
	v_mul_f64 v[18:19], v[94:95], s[46:47]
	v_fma_f64 v[54:55], v[126:127], s[36:37], v[10:11]
	v_fma_f64 v[10:11], v[126:127], s[36:37], -v[10:11]
	v_add_f64 v[14:15], v[26:27], v[14:15]
	v_fma_f64 v[24:25], v[214:215], s[36:37], -v[60:61]
	v_add_f64 v[48:49], v[68:69], v[48:49]
	;; [unrolled: 2-line block ×3, first 2 shown]
	v_add_f64 v[16:17], v[246:247], v[16:17]
	v_add_f64 v[26:27], v[54:55], v[56:57]
	;; [unrolled: 1-line block ×3, first 2 shown]
	v_fma_f64 v[10:11], v[212:213], s[38:39], v[58:59]
	v_add_f64 v[58:59], v[22:23], v[158:159]
	v_add_f64 v[48:49], v[62:63], v[48:49]
	v_mov_b32_e32 v168, v172
	v_mov_b32_e32 v169, v173
	;; [unrolled: 1-line block ×5, first 2 shown]
	v_add_f64 v[54:55], v[10:11], v[14:15]
	v_mov_b32_e32 v173, v177
	v_add_f64 v[48:49], v[50:51], v[48:49]
	v_fma_f64 v[50:51], v[124:125], s[38:39], -v[18:19]
	v_fma_f64 v[18:19], v[124:125], s[38:39], v[18:19]
	v_mov_b32_e32 v174, v178
	v_mov_b32_e32 v175, v179
	;; [unrolled: 1-line block ×5, first 2 shown]
	v_add_f64 v[24:25], v[24:25], v[48:49]
	v_add_f64 v[56:57], v[50:51], v[8:9]
	;; [unrolled: 1-line block ×3, first 2 shown]
	v_mov_b32_e32 v179, v183
	v_mov_b32_e32 v180, v184
	;; [unrolled: 1-line block ×14, first 2 shown]
	v_add_f64 v[62:63], v[12:13], v[16:17]
	v_mov_b32_e32 v193, v197
	v_mov_b32_e32 v194, v198
	;; [unrolled: 1-line block ×4, first 2 shown]
	v_add_f64 v[68:69], v[18:19], v[26:27]
	v_add_f64 v[66:67], v[66:67], v[24:25]
	v_mov_b32_e32 v198, v146
	v_mov_b32_e32 v197, v145
	;; [unrolled: 1-line block ×3, first 2 shown]
	s_waitcnt vmcnt(0)
	v_lshlrev_b32_e32 v0, 4, v0
	ds_write_b128 v0, v[58:61]
	ds_write_b128 v0, v[54:57] offset:16
	ds_write_b128 v0, v[50:53] offset:32
	;; [unrolled: 1-line block ×7, first 2 shown]
	buffer_load_dword v1, off, s[64:67], 0 offset:1200 ; 4-byte Folded Reload
	buffer_load_dword v2, off, s[64:67], 0 offset:1204 ; 4-byte Folded Reload
	buffer_load_dword v3, off, s[64:67], 0 offset:1208 ; 4-byte Folded Reload
	buffer_load_dword v4, off, s[64:67], 0 offset:1212 ; 4-byte Folded Reload
	s_waitcnt vmcnt(0)
	ds_write_b128 v0, v[1:4] offset:128
	buffer_load_dword v1, off, s[64:67], 0 offset:1168 ; 4-byte Folded Reload
	buffer_load_dword v2, off, s[64:67], 0 offset:1172 ; 4-byte Folded Reload
	buffer_load_dword v3, off, s[64:67], 0 offset:1176 ; 4-byte Folded Reload
	buffer_load_dword v4, off, s[64:67], 0 offset:1180 ; 4-byte Folded Reload
	s_waitcnt vmcnt(0)
	ds_write_b128 v0, v[1:4] offset:144
	buffer_load_dword v1, off, s[64:67], 0 offset:1184 ; 4-byte Folded Reload
	buffer_load_dword v2, off, s[64:67], 0 offset:1188 ; 4-byte Folded Reload
	buffer_load_dword v3, off, s[64:67], 0 offset:1192 ; 4-byte Folded Reload
	buffer_load_dword v4, off, s[64:67], 0 offset:1196 ; 4-byte Folded Reload
	s_waitcnt vmcnt(0)
	ds_write_b128 v0, v[1:4] offset:160
	ds_write_b128 v0, v[104:107] offset:176
	ds_write_b128 v0, v[112:115] offset:192
	;; [unrolled: 1-line block ×6, first 2 shown]
.LBB0_13:
	s_or_b64 exec, exec, s[56:57]
	s_waitcnt lgkmcnt(0)
	; wave barrier
	s_waitcnt lgkmcnt(0)
	ds_read_b128 v[52:55], v255 offset:7344
	ds_read_b128 v[48:51], v255 offset:6528
	buffer_load_dword v4, off, s[64:67], 0 offset:404 ; 4-byte Folded Reload
	buffer_load_dword v5, off, s[64:67], 0 offset:408 ; 4-byte Folded Reload
	buffer_load_dword v6, off, s[64:67], 0 offset:412 ; 4-byte Folded Reload
	buffer_load_dword v7, off, s[64:67], 0 offset:416 ; 4-byte Folded Reload
	s_mov_b32 s0, 0xe8584caa
	s_mov_b32 s1, 0xbfebb67a
	;; [unrolled: 1-line block ×22, first 2 shown]
	s_waitcnt vmcnt(0) lgkmcnt(1)
	v_mul_f64 v[0:1], v[6:7], v[54:55]
	v_mul_f64 v[2:3], v[6:7], v[52:53]
	v_fma_f64 v[0:1], v[4:5], v[52:53], v[0:1]
	v_fma_f64 v[2:3], v[4:5], v[54:55], -v[2:3]
	ds_read_b128 v[52:55], v255 offset:14688
	ds_read_b128 v[56:59], v255 offset:15504
	s_waitcnt lgkmcnt(1)
	v_mul_f64 v[4:5], v[228:229], v[54:55]
	v_mul_f64 v[6:7], v[228:229], v[52:53]
	v_fma_f64 v[4:5], v[226:227], v[52:53], v[4:5]
	v_fma_f64 v[6:7], v[226:227], v[54:55], -v[6:7]
	ds_read_b128 v[52:55], v255 offset:8160
	ds_read_b128 v[60:63], v255 offset:8976
	buffer_load_dword v12, off, s[64:67], 0 offset:436 ; 4-byte Folded Reload
	buffer_load_dword v13, off, s[64:67], 0 offset:440 ; 4-byte Folded Reload
	;; [unrolled: 1-line block ×12, first 2 shown]
	s_waitcnt vmcnt(8) lgkmcnt(1)
	v_mul_f64 v[8:9], v[14:15], v[54:55]
	v_mul_f64 v[10:11], v[14:15], v[52:53]
	s_waitcnt vmcnt(4)
	v_mul_f64 v[14:15], v[18:19], v[56:57]
	v_fma_f64 v[8:9], v[12:13], v[52:53], v[8:9]
	v_fma_f64 v[10:11], v[12:13], v[54:55], -v[10:11]
	v_mul_f64 v[12:13], v[18:19], v[58:59]
	v_fma_f64 v[14:15], v[16:17], v[58:59], -v[14:15]
	s_waitcnt vmcnt(0) lgkmcnt(0)
	v_mul_f64 v[18:19], v[22:23], v[60:61]
	v_fma_f64 v[12:13], v[16:17], v[56:57], v[12:13]
	ds_read_b128 v[52:55], v255 offset:16320
	ds_read_b128 v[56:59], v255 offset:17136
	buffer_load_dword v24, off, s[64:67], 0 offset:452 ; 4-byte Folded Reload
	buffer_load_dword v25, off, s[64:67], 0 offset:456 ; 4-byte Folded Reload
	;; [unrolled: 1-line block ×4, first 2 shown]
	v_mul_f64 v[16:17], v[22:23], v[62:63]
	v_fma_f64 v[18:19], v[20:21], v[62:63], -v[18:19]
	v_fma_f64 v[16:17], v[20:21], v[60:61], v[16:17]
	s_waitcnt vmcnt(0) lgkmcnt(1)
	v_mul_f64 v[20:21], v[26:27], v[54:55]
	v_mul_f64 v[22:23], v[26:27], v[52:53]
	v_fma_f64 v[20:21], v[24:25], v[52:53], v[20:21]
	v_fma_f64 v[22:23], v[24:25], v[54:55], -v[22:23]
	ds_read_b128 v[52:55], v255 offset:9792
	ds_read_b128 v[60:63], v255 offset:10608
	buffer_load_dword v28, off, s[64:67], 0 offset:500 ; 4-byte Folded Reload
	buffer_load_dword v29, off, s[64:67], 0 offset:504 ; 4-byte Folded Reload
	;; [unrolled: 1-line block ×4, first 2 shown]
	s_waitcnt vmcnt(0) lgkmcnt(1)
	v_mul_f64 v[24:25], v[30:31], v[54:55]
	v_mul_f64 v[26:27], v[30:31], v[52:53]
	v_fma_f64 v[24:25], v[28:29], v[52:53], v[24:25]
	v_fma_f64 v[26:27], v[28:29], v[54:55], -v[26:27]
	buffer_load_dword v28, off, s[64:67], 0 offset:484 ; 4-byte Folded Reload
	buffer_load_dword v29, off, s[64:67], 0 offset:488 ; 4-byte Folded Reload
	buffer_load_dword v30, off, s[64:67], 0 offset:492 ; 4-byte Folded Reload
	buffer_load_dword v31, off, s[64:67], 0 offset:496 ; 4-byte Folded Reload
	s_waitcnt vmcnt(0)
	v_mul_f64 v[52:53], v[30:31], v[58:59]
	v_fma_f64 v[92:93], v[28:29], v[56:57], v[52:53]
	v_mul_f64 v[52:53], v[30:31], v[56:57]
	v_fma_f64 v[94:95], v[28:29], v[58:59], -v[52:53]
	buffer_load_dword v28, off, s[64:67], 0 offset:532 ; 4-byte Folded Reload
	buffer_load_dword v29, off, s[64:67], 0 offset:536 ; 4-byte Folded Reload
	;; [unrolled: 1-line block ×4, first 2 shown]
	s_waitcnt vmcnt(0) lgkmcnt(0)
	v_mul_f64 v[52:53], v[30:31], v[62:63]
	v_fma_f64 v[96:97], v[28:29], v[60:61], v[52:53]
	v_mul_f64 v[52:53], v[30:31], v[60:61]
	v_fma_f64 v[98:99], v[28:29], v[62:63], -v[52:53]
	ds_read_b128 v[52:55], v255 offset:17952
	ds_read_b128 v[56:59], v255 offset:18768
	buffer_load_dword v28, off, s[64:67], 0 offset:516 ; 4-byte Folded Reload
	buffer_load_dword v29, off, s[64:67], 0 offset:520 ; 4-byte Folded Reload
	;; [unrolled: 1-line block ×4, first 2 shown]
	s_waitcnt vmcnt(0) lgkmcnt(1)
	v_mul_f64 v[60:61], v[30:31], v[54:55]
	v_fma_f64 v[100:101], v[28:29], v[52:53], v[60:61]
	v_mul_f64 v[52:53], v[30:31], v[52:53]
	v_fma_f64 v[102:103], v[28:29], v[54:55], -v[52:53]
	ds_read_b128 v[52:55], v255 offset:11424
	ds_read_b128 v[60:63], v255 offset:12240
	buffer_load_dword v28, off, s[64:67], 0 offset:564 ; 4-byte Folded Reload
	buffer_load_dword v29, off, s[64:67], 0 offset:568 ; 4-byte Folded Reload
	;; [unrolled: 1-line block ×4, first 2 shown]
	s_waitcnt vmcnt(0) lgkmcnt(1)
	v_mul_f64 v[64:65], v[30:31], v[54:55]
	v_fma_f64 v[104:105], v[28:29], v[52:53], v[64:65]
	v_mul_f64 v[52:53], v[30:31], v[52:53]
	v_fma_f64 v[106:107], v[28:29], v[54:55], -v[52:53]
	buffer_load_dword v28, off, s[64:67], 0 offset:548 ; 4-byte Folded Reload
	buffer_load_dword v29, off, s[64:67], 0 offset:552 ; 4-byte Folded Reload
	;; [unrolled: 1-line block ×4, first 2 shown]
	s_waitcnt vmcnt(0)
	v_mul_f64 v[52:53], v[30:31], v[58:59]
	v_fma_f64 v[108:109], v[28:29], v[56:57], v[52:53]
	v_mul_f64 v[52:53], v[30:31], v[56:57]
	v_fma_f64 v[110:111], v[28:29], v[58:59], -v[52:53]
	buffer_load_dword v28, off, s[64:67], 0 offset:596 ; 4-byte Folded Reload
	buffer_load_dword v29, off, s[64:67], 0 offset:600 ; 4-byte Folded Reload
	;; [unrolled: 1-line block ×4, first 2 shown]
	s_waitcnt vmcnt(0) lgkmcnt(0)
	v_mul_f64 v[52:53], v[30:31], v[62:63]
	v_fma_f64 v[112:113], v[28:29], v[60:61], v[52:53]
	v_mul_f64 v[52:53], v[30:31], v[60:61]
	v_fma_f64 v[114:115], v[28:29], v[62:63], -v[52:53]
	ds_read_b128 v[52:55], v255 offset:19584
	ds_read_b128 v[56:59], v255 offset:20400
	buffer_load_dword v28, off, s[64:67], 0 offset:580 ; 4-byte Folded Reload
	buffer_load_dword v29, off, s[64:67], 0 offset:584 ; 4-byte Folded Reload
	;; [unrolled: 1-line block ×4, first 2 shown]
	s_waitcnt vmcnt(0) lgkmcnt(1)
	v_mul_f64 v[60:61], v[30:31], v[54:55]
	v_fma_f64 v[116:117], v[28:29], v[52:53], v[60:61]
	v_mul_f64 v[52:53], v[30:31], v[52:53]
	v_fma_f64 v[118:119], v[28:29], v[54:55], -v[52:53]
	ds_read_b128 v[52:55], v255 offset:13056
	ds_read_b128 v[60:63], v255 offset:13872
	buffer_load_dword v28, off, s[64:67], 0 offset:644 ; 4-byte Folded Reload
	buffer_load_dword v29, off, s[64:67], 0 offset:648 ; 4-byte Folded Reload
	;; [unrolled: 1-line block ×4, first 2 shown]
	s_waitcnt vmcnt(0) lgkmcnt(1)
	v_mul_f64 v[64:65], v[30:31], v[54:55]
	v_fma_f64 v[120:121], v[28:29], v[52:53], v[64:65]
	v_mul_f64 v[52:53], v[30:31], v[52:53]
	v_fma_f64 v[122:123], v[28:29], v[54:55], -v[52:53]
	buffer_load_dword v28, off, s[64:67], 0 offset:628 ; 4-byte Folded Reload
	buffer_load_dword v29, off, s[64:67], 0 offset:632 ; 4-byte Folded Reload
	;; [unrolled: 1-line block ×4, first 2 shown]
	s_waitcnt vmcnt(0)
	v_mul_f64 v[52:53], v[30:31], v[58:59]
	v_fma_f64 v[124:125], v[28:29], v[56:57], v[52:53]
	v_mul_f64 v[52:53], v[30:31], v[56:57]
	v_fma_f64 v[126:127], v[28:29], v[58:59], -v[52:53]
	buffer_load_dword v28, off, s[64:67], 0 offset:676 ; 4-byte Folded Reload
	buffer_load_dword v29, off, s[64:67], 0 offset:680 ; 4-byte Folded Reload
	;; [unrolled: 1-line block ×4, first 2 shown]
	s_waitcnt vmcnt(0) lgkmcnt(0)
	v_mul_f64 v[52:53], v[30:31], v[62:63]
	v_fma_f64 v[128:129], v[28:29], v[60:61], v[52:53]
	v_mul_f64 v[52:53], v[30:31], v[60:61]
	v_add_f64 v[60:61], v[0:1], v[4:5]
	v_fma_f64 v[130:131], v[28:29], v[62:63], -v[52:53]
	ds_read_b128 v[52:55], v255 offset:21216
	buffer_load_dword v28, off, s[64:67], 0 offset:660 ; 4-byte Folded Reload
	buffer_load_dword v29, off, s[64:67], 0 offset:664 ; 4-byte Folded Reload
	;; [unrolled: 1-line block ×4, first 2 shown]
	s_waitcnt vmcnt(0) lgkmcnt(0)
	v_mul_f64 v[56:57], v[30:31], v[54:55]
	v_fma_f64 v[132:133], v[28:29], v[52:53], v[56:57]
	v_mul_f64 v[52:53], v[30:31], v[52:53]
	v_fma_f64 v[134:135], v[28:29], v[54:55], -v[52:53]
	ds_read_b128 v[52:55], v255
	ds_read_b128 v[56:59], v255 offset:816
	ds_read_b128 v[68:71], v255 offset:1632
	;; [unrolled: 1-line block ×7, first 2 shown]
	s_waitcnt lgkmcnt(0)
	; wave barrier
	s_waitcnt lgkmcnt(0)
	v_fma_f64 v[62:63], v[60:61], -0.5, v[52:53]
	v_add_f64 v[60:61], v[2:3], v[6:7]
	v_add_f64 v[52:53], v[52:53], v[0:1]
	v_add_f64 v[0:1], v[0:1], -v[4:5]
	v_fma_f64 v[66:67], v[60:61], -0.5, v[54:55]
	v_add_f64 v[54:55], v[54:55], v[2:3]
	v_add_f64 v[2:3], v[2:3], -v[6:7]
	v_add_f64 v[52:53], v[52:53], v[4:5]
	v_add_f64 v[4:5], v[58:59], v[10:11]
	;; [unrolled: 1-line block ×3, first 2 shown]
	v_fma_f64 v[60:61], v[2:3], s[0:1], v[62:63]
	v_fma_f64 v[64:65], v[2:3], s[2:3], v[62:63]
	;; [unrolled: 1-line block ×4, first 2 shown]
	buffer_load_dword v0, off, s[64:67], 0 offset:740 ; 4-byte Folded Reload
	v_add_f64 v[2:3], v[10:11], v[14:15]
	v_add_f64 v[10:11], v[10:11], -v[14:15]
	v_add_f64 v[6:7], v[56:57], v[8:9]
	s_waitcnt vmcnt(0)
	ds_write_b128 v0, v[52:55]
	ds_write_b128 v0, v[60:63] offset:272
	ds_write_b128 v0, v[64:67] offset:544
	v_add_f64 v[0:1], v[8:9], v[12:13]
	v_fma_f64 v[2:3], v[2:3], -0.5, v[58:59]
	v_add_f64 v[54:55], v[4:5], v[14:15]
	v_add_f64 v[4:5], v[8:9], -v[12:13]
	v_add_f64 v[52:53], v[6:7], v[12:13]
	v_add_f64 v[8:9], v[18:19], -v[22:23]
	v_add_f64 v[6:7], v[68:69], v[16:17]
	v_fma_f64 v[0:1], v[0:1], -0.5, v[56:57]
	v_fma_f64 v[58:59], v[4:5], s[2:3], v[2:3]
	v_fma_f64 v[62:63], v[4:5], s[0:1], v[2:3]
	v_add_f64 v[2:3], v[18:19], v[22:23]
	v_add_f64 v[4:5], v[70:71], v[18:19]
	v_fma_f64 v[56:57], v[10:11], s[0:1], v[0:1]
	v_fma_f64 v[60:61], v[10:11], s[2:3], v[0:1]
	buffer_load_dword v0, off, s[64:67], 0 offset:732 ; 4-byte Folded Reload
	v_add_f64 v[10:11], v[112:113], -v[116:117]
	s_waitcnt vmcnt(0)
	ds_write_b128 v0, v[52:55]
	ds_write_b128 v0, v[56:59] offset:272
	ds_write_b128 v0, v[60:63] offset:544
	v_add_f64 v[0:1], v[16:17], v[20:21]
	v_fma_f64 v[2:3], v[2:3], -0.5, v[70:71]
	v_add_f64 v[54:55], v[4:5], v[22:23]
	v_add_f64 v[4:5], v[16:17], -v[20:21]
	v_add_f64 v[52:53], v[6:7], v[20:21]
	v_add_f64 v[6:7], v[72:73], v[24:25]
	v_fma_f64 v[0:1], v[0:1], -0.5, v[68:69]
	v_fma_f64 v[58:59], v[4:5], s[2:3], v[2:3]
	v_fma_f64 v[62:63], v[4:5], s[0:1], v[2:3]
	v_add_f64 v[2:3], v[26:27], v[94:95]
	v_add_f64 v[4:5], v[74:75], v[26:27]
	v_fma_f64 v[56:57], v[8:9], s[0:1], v[0:1]
	v_fma_f64 v[60:61], v[8:9], s[2:3], v[0:1]
	buffer_load_dword v0, off, s[64:67], 0 offset:724 ; 4-byte Folded Reload
	v_add_f64 v[8:9], v[26:27], -v[94:95]
	s_waitcnt vmcnt(0)
	ds_write_b128 v0, v[52:55]
	ds_write_b128 v0, v[56:59] offset:272
	ds_write_b128 v0, v[60:63] offset:544
	v_add_f64 v[0:1], v[24:25], v[92:93]
	v_fma_f64 v[2:3], v[2:3], -0.5, v[74:75]
	v_add_f64 v[54:55], v[4:5], v[94:95]
	v_add_f64 v[4:5], v[24:25], -v[92:93]
	v_add_f64 v[52:53], v[6:7], v[92:93]
	v_add_f64 v[6:7], v[76:77], v[96:97]
	v_fma_f64 v[0:1], v[0:1], -0.5, v[72:73]
	v_fma_f64 v[58:59], v[4:5], s[2:3], v[2:3]
	v_fma_f64 v[62:63], v[4:5], s[0:1], v[2:3]
	v_add_f64 v[2:3], v[98:99], v[102:103]
	v_add_f64 v[4:5], v[78:79], v[98:99]
	v_fma_f64 v[56:57], v[8:9], s[0:1], v[0:1]
	v_fma_f64 v[60:61], v[8:9], s[2:3], v[0:1]
	buffer_load_dword v0, off, s[64:67], 0 offset:716 ; 4-byte Folded Reload
	v_add_f64 v[8:9], v[98:99], -v[102:103]
	s_waitcnt vmcnt(0)
	ds_write_b128 v0, v[52:55]
	ds_write_b128 v0, v[56:59] offset:272
	ds_write_b128 v0, v[60:63] offset:544
	v_add_f64 v[0:1], v[96:97], v[100:101]
	v_fma_f64 v[2:3], v[2:3], -0.5, v[78:79]
	v_add_f64 v[54:55], v[4:5], v[102:103]
	v_add_f64 v[4:5], v[96:97], -v[100:101]
	v_add_f64 v[52:53], v[6:7], v[100:101]
	v_add_f64 v[6:7], v[80:81], v[104:105]
	v_fma_f64 v[0:1], v[0:1], -0.5, v[76:77]
	v_fma_f64 v[58:59], v[4:5], s[2:3], v[2:3]
	v_fma_f64 v[62:63], v[4:5], s[0:1], v[2:3]
	v_add_f64 v[2:3], v[106:107], v[110:111]
	v_add_f64 v[4:5], v[82:83], v[106:107]
	v_fma_f64 v[56:57], v[8:9], s[0:1], v[0:1]
	v_fma_f64 v[60:61], v[8:9], s[2:3], v[0:1]
	buffer_load_dword v0, off, s[64:67], 0 offset:708 ; 4-byte Folded Reload
	v_add_f64 v[8:9], v[106:107], -v[110:111]
	s_waitcnt vmcnt(0)
	ds_write_b128 v0, v[52:55]
	ds_write_b128 v0, v[56:59] offset:272
	ds_write_b128 v0, v[60:63] offset:544
	v_add_f64 v[0:1], v[104:105], v[108:109]
	v_fma_f64 v[2:3], v[2:3], -0.5, v[82:83]
	v_add_f64 v[54:55], v[4:5], v[110:111]
	v_add_f64 v[4:5], v[104:105], -v[108:109]
	v_add_f64 v[52:53], v[6:7], v[108:109]
	v_add_f64 v[6:7], v[86:87], v[114:115]
	v_fma_f64 v[0:1], v[0:1], -0.5, v[80:81]
	v_fma_f64 v[58:59], v[4:5], s[2:3], v[2:3]
	v_fma_f64 v[62:63], v[4:5], s[0:1], v[2:3]
	v_add_f64 v[2:3], v[114:115], v[118:119]
	v_add_f64 v[4:5], v[84:85], v[112:113]
	v_fma_f64 v[56:57], v[8:9], s[0:1], v[0:1]
	v_fma_f64 v[60:61], v[8:9], s[2:3], v[0:1]
	buffer_load_dword v0, off, s[64:67], 0 offset:700 ; 4-byte Folded Reload
	v_add_f64 v[8:9], v[114:115], -v[118:119]
	s_waitcnt vmcnt(0)
	ds_write_b128 v0, v[52:55]
	ds_write_b128 v0, v[56:59] offset:272
	ds_write_b128 v0, v[60:63] offset:544
	v_add_f64 v[0:1], v[112:113], v[116:117]
	v_fma_f64 v[2:3], v[2:3], -0.5, v[86:87]
	v_add_f64 v[52:53], v[4:5], v[116:117]
	v_add_f64 v[54:55], v[6:7], v[118:119]
	v_add_f64 v[4:5], v[88:89], v[120:121]
	v_add_f64 v[6:7], v[90:91], v[122:123]
	v_fma_f64 v[0:1], v[0:1], -0.5, v[84:85]
	v_fma_f64 v[58:59], v[10:11], s[2:3], v[2:3]
	v_fma_f64 v[62:63], v[10:11], s[0:1], v[2:3]
	v_add_f64 v[2:3], v[122:123], v[126:127]
	v_add_f64 v[10:11], v[120:121], -v[124:125]
	v_add_f64 v[64:65], v[4:5], v[124:125]
	v_add_f64 v[66:67], v[6:7], v[126:127]
	;; [unrolled: 1-line block ×3, first 2 shown]
	v_fma_f64 v[56:57], v[8:9], s[0:1], v[0:1]
	v_fma_f64 v[60:61], v[8:9], s[2:3], v[0:1]
	v_add_f64 v[0:1], v[120:121], v[124:125]
	v_add_f64 v[8:9], v[122:123], -v[126:127]
	v_fma_f64 v[2:3], v[2:3], -0.5, v[90:91]
	v_add_f64 v[6:7], v[50:51], v[130:131]
	v_fma_f64 v[0:1], v[0:1], -0.5, v[88:89]
	v_fma_f64 v[70:71], v[10:11], s[2:3], v[2:3]
	v_fma_f64 v[74:75], v[10:11], s[0:1], v[2:3]
	v_add_f64 v[2:3], v[130:131], v[134:135]
	v_add_f64 v[10:11], v[128:129], -v[132:133]
	v_fma_f64 v[68:69], v[8:9], s[0:1], v[0:1]
	v_fma_f64 v[72:73], v[8:9], s[2:3], v[0:1]
	v_add_f64 v[0:1], v[128:129], v[132:133]
	v_add_f64 v[8:9], v[130:131], -v[134:135]
	ds_write_b128 v250, v[52:55]
	ds_write_b128 v250, v[56:59] offset:272
	ds_write_b128 v250, v[60:63] offset:544
	ds_write_b128 v251, v[64:67]
	ds_write_b128 v251, v[68:71] offset:272
	ds_write_b128 v251, v[72:75] offset:544
	v_fma_f64 v[2:3], v[2:3], -0.5, v[50:51]
	v_add_f64 v[50:51], v[6:7], v[134:135]
	v_fma_f64 v[0:1], v[0:1], -0.5, v[48:49]
	v_add_f64 v[48:49], v[4:5], v[132:133]
	v_fma_f64 v[78:79], v[10:11], s[2:3], v[2:3]
	v_fma_f64 v[82:83], v[10:11], s[0:1], v[2:3]
	;; [unrolled: 1-line block ×4, first 2 shown]
	buffer_load_dword v0, off, s[64:67], 0 offset:692 ; 4-byte Folded Reload
	s_waitcnt vmcnt(0)
	ds_write_b128 v0, v[48:51]
	ds_write_b128 v0, v[76:79] offset:272
	ds_write_b128 v0, v[80:83] offset:544
	s_waitcnt lgkmcnt(0)
	; wave barrier
	s_waitcnt lgkmcnt(0)
	ds_read_b128 v[52:55], v255 offset:2448
	ds_read_b128 v[56:59], v255 offset:4896
	;; [unrolled: 1-line block ×6, first 2 shown]
	s_waitcnt lgkmcnt(5)
	v_mul_f64 v[0:1], v[194:195], v[54:55]
	v_mul_f64 v[2:3], v[194:195], v[52:53]
	s_waitcnt lgkmcnt(4)
	v_mul_f64 v[4:5], v[190:191], v[58:59]
	v_mul_f64 v[6:7], v[190:191], v[56:57]
	ds_read_b128 v[68:71], v255 offset:7344
	ds_read_b128 v[116:119], v255 offset:6528
	;; [unrolled: 1-line block ×4, first 2 shown]
	v_fma_f64 v[52:53], v[192:193], v[52:53], v[0:1]
	s_waitcnt lgkmcnt(5)
	v_mul_f64 v[0:1], v[194:195], v[66:67]
	v_fma_f64 v[54:55], v[192:193], v[54:55], -v[2:3]
	v_fma_f64 v[56:57], v[188:189], v[56:57], v[4:5]
	v_mul_f64 v[2:3], v[194:195], v[64:65]
	v_fma_f64 v[58:59], v[188:189], v[58:59], -v[6:7]
	v_mul_f64 v[4:5], v[190:191], v[62:63]
	v_mul_f64 v[6:7], v[190:191], v[60:61]
	s_waitcnt lgkmcnt(3)
	v_mul_f64 v[8:9], v[182:183], v[70:71]
	v_fma_f64 v[84:85], v[192:193], v[64:65], v[0:1]
	v_mul_f64 v[0:1], v[182:183], v[68:69]
	v_fma_f64 v[80:81], v[192:193], v[66:67], -v[2:3]
	ds_read_b128 v[64:67], v255 offset:8160
	v_fma_f64 v[86:87], v[188:189], v[60:61], v[4:5]
	v_fma_f64 v[82:83], v[188:189], v[62:63], -v[6:7]
	v_fma_f64 v[60:61], v[180:181], v[68:69], v[8:9]
	v_fma_f64 v[62:63], v[180:181], v[70:71], -v[0:1]
	ds_read_b128 v[68:71], v255 offset:9792
	s_waitcnt lgkmcnt(1)
	v_mul_f64 v[2:3], v[182:183], v[66:67]
	v_mul_f64 v[4:5], v[182:183], v[64:65]
	s_waitcnt lgkmcnt(0)
	v_mul_f64 v[0:1], v[174:175], v[70:71]
	v_fma_f64 v[96:97], v[180:181], v[64:65], v[2:3]
	v_fma_f64 v[94:95], v[180:181], v[66:67], -v[4:5]
	v_mul_f64 v[2:3], v[174:175], v[68:69]
	v_fma_f64 v[66:67], v[172:173], v[68:69], v[0:1]
	v_mul_f64 v[0:1], v[174:175], v[74:75]
	v_fma_f64 v[64:65], v[172:173], v[70:71], -v[2:3]
	v_mul_f64 v[2:3], v[174:175], v[72:73]
	v_fma_f64 v[98:99], v[172:173], v[72:73], v[0:1]
	ds_read_b128 v[70:73], v255 offset:12240
	ds_read_b128 v[136:139], v255 offset:11424
	s_waitcnt lgkmcnt(1)
	v_mul_f64 v[0:1], v[198:199], v[72:73]
	v_fma_f64 v[92:93], v[172:173], v[74:75], -v[2:3]
	v_fma_f64 v[68:69], v[196:197], v[70:71], v[0:1]
	v_mul_f64 v[0:1], v[198:199], v[70:71]
	v_add_f64 v[22:23], v[66:67], -v[68:69]
	v_fma_f64 v[70:71], v[196:197], v[72:73], -v[0:1]
	ds_read_b128 v[72:75], v255 offset:13056
	ds_read_b128 v[140:143], v255 offset:13872
	v_add_f64 v[24:25], v[66:67], v[68:69]
	s_waitcnt lgkmcnt(1)
	v_mul_f64 v[0:1], v[198:199], v[74:75]
	v_add_f64 v[26:27], v[64:65], -v[70:71]
	v_fma_f64 v[100:101], v[196:197], v[72:73], v[0:1]
	v_mul_f64 v[0:1], v[198:199], v[72:73]
	v_fma_f64 v[102:103], v[196:197], v[74:75], -v[0:1]
	ds_read_b128 v[74:77], v255 offset:14688
	ds_read_b128 v[106:109], v255 offset:15504
	s_waitcnt lgkmcnt(1)
	v_mul_f64 v[0:1], v[186:187], v[76:77]
	v_fma_f64 v[72:73], v[184:185], v[74:75], v[0:1]
	v_mul_f64 v[0:1], v[186:187], v[74:75]
	v_add_f64 v[18:19], v[60:61], -v[72:73]
	v_fma_f64 v[74:75], v[184:185], v[76:77], -v[0:1]
	s_waitcnt lgkmcnt(0)
	v_mul_f64 v[0:1], v[186:187], v[108:109]
	v_add_f64 v[8:9], v[62:63], v[74:75]
	v_fma_f64 v[104:105], v[184:185], v[106:107], v[0:1]
	v_mul_f64 v[0:1], v[186:187], v[106:107]
	v_add_f64 v[20:21], v[62:63], -v[74:75]
	v_fma_f64 v[106:107], v[184:185], v[108:109], -v[0:1]
	ds_read_b128 v[108:111], v255 offset:17136
	ds_read_b128 v[144:147], v255 offset:16320
	s_waitcnt lgkmcnt(1)
	v_mul_f64 v[0:1], v[178:179], v[110:111]
	v_fma_f64 v[78:79], v[176:177], v[108:109], v[0:1]
	v_mul_f64 v[0:1], v[178:179], v[108:109]
	v_add_f64 v[14:15], v[56:57], -v[78:79]
	v_fma_f64 v[148:149], v[176:177], v[110:111], -v[0:1]
	ds_read_b128 v[110:113], v255 offset:17952
	ds_read_b128 v[152:155], v255 offset:18768
	s_waitcnt lgkmcnt(1)
	v_mul_f64 v[0:1], v[178:179], v[112:113]
	v_add_f64 v[6:7], v[58:59], v[148:149]
	v_add_f64 v[16:17], v[58:59], -v[148:149]
	v_fma_f64 v[108:109], v[176:177], v[110:111], v[0:1]
	v_mul_f64 v[0:1], v[178:179], v[110:111]
	v_fma_f64 v[110:111], v[176:177], v[112:113], -v[0:1]
	ds_read_b128 v[112:115], v255 offset:19584
	ds_read_b128 v[124:127], v255 offset:20400
	buffer_load_dword v2, off, s[64:67], 0 offset:796 ; 4-byte Folded Reload
	buffer_load_dword v3, off, s[64:67], 0 offset:800 ; 4-byte Folded Reload
	;; [unrolled: 1-line block ×4, first 2 shown]
	s_waitcnt lgkmcnt(1)
	v_mul_f64 v[0:1], v[170:171], v[114:115]
	v_fma_f64 v[150:151], v[168:169], v[112:113], v[0:1]
	v_mul_f64 v[0:1], v[170:171], v[112:113]
	v_add_f64 v[76:77], v[52:53], v[150:151]
	v_fma_f64 v[156:157], v[168:169], v[114:115], -v[0:1]
	s_waitcnt lgkmcnt(0)
	v_mul_f64 v[0:1], v[170:171], v[126:127]
	v_fma_f64 v[112:113], v[168:169], v[124:125], v[0:1]
	v_mul_f64 v[0:1], v[170:171], v[124:125]
	v_fma_f64 v[114:115], v[168:169], v[126:127], -v[0:1]
	s_waitcnt vmcnt(0)
	v_mul_f64 v[0:1], v[4:5], v[90:91]
	v_fma_f64 v[124:125], v[2:3], v[88:89], v[0:1]
	v_mul_f64 v[0:1], v[4:5], v[88:89]
	v_fma_f64 v[126:127], v[2:3], v[90:91], -v[0:1]
	buffer_load_dword v2, off, s[64:67], 0 offset:780 ; 4-byte Folded Reload
	buffer_load_dword v3, off, s[64:67], 0 offset:784 ; 4-byte Folded Reload
	buffer_load_dword v4, off, s[64:67], 0 offset:788 ; 4-byte Folded Reload
	buffer_load_dword v5, off, s[64:67], 0 offset:792 ; 4-byte Folded Reload
	s_waitcnt vmcnt(0)
	v_mul_f64 v[0:1], v[4:5], v[118:119]
	v_fma_f64 v[128:129], v[2:3], v[116:117], v[0:1]
	v_mul_f64 v[0:1], v[4:5], v[116:117]
	v_fma_f64 v[130:131], v[2:3], v[118:119], -v[0:1]
	buffer_load_dword v2, off, s[64:67], 0 offset:764 ; 4-byte Folded Reload
	buffer_load_dword v3, off, s[64:67], 0 offset:768 ; 4-byte Folded Reload
	buffer_load_dword v4, off, s[64:67], 0 offset:772 ; 4-byte Folded Reload
	buffer_load_dword v5, off, s[64:67], 0 offset:776 ; 4-byte Folded Reload
	;; [unrolled: 9-line block ×6, first 2 shown]
	ds_read_b128 v[88:91], v255 offset:21216
	s_waitcnt vmcnt(0)
	v_mul_f64 v[0:1], v[4:5], v[154:155]
	v_fma_f64 v[140:141], v[2:3], v[152:153], v[0:1]
	v_mul_f64 v[0:1], v[4:5], v[152:153]
	v_add_f64 v[152:153], v[60:61], v[72:73]
	v_fma_f64 v[142:143], v[2:3], v[154:155], -v[0:1]
	buffer_load_dword v2, off, s[64:67], 0 offset:860 ; 4-byte Folded Reload
	buffer_load_dword v3, off, s[64:67], 0 offset:864 ; 4-byte Folded Reload
	;; [unrolled: 1-line block ×4, first 2 shown]
	v_add_f64 v[154:155], v[56:57], v[78:79]
	s_waitcnt vmcnt(0) lgkmcnt(0)
	v_mul_f64 v[0:1], v[4:5], v[90:91]
	v_fma_f64 v[144:145], v[2:3], v[88:89], v[0:1]
	v_mul_f64 v[0:1], v[4:5], v[88:89]
	v_add_f64 v[4:5], v[54:55], v[156:157]
	v_fma_f64 v[146:147], v[2:3], v[90:91], -v[0:1]
	v_add_f64 v[0:1], v[154:155], v[76:77]
	v_add_f64 v[10:11], v[6:7], v[4:5]
	ds_read_b128 v[158:161], v255
	ds_read_b128 v[88:91], v255 offset:816
	s_waitcnt lgkmcnt(0)
	; wave barrier
	s_waitcnt lgkmcnt(0)
	v_fma_f64 v[58:59], v[76:77], s[22:23], v[158:159]
	v_fma_f64 v[60:61], v[4:5], s[22:23], v[160:161]
	v_add_f64 v[2:3], v[152:153], v[0:1]
	v_add_f64 v[12:13], v[8:9], v[10:11]
	;; [unrolled: 1-line block ×4, first 2 shown]
	v_fma_f64 v[58:59], v[154:155], s[18:19], v[58:59]
	v_fma_f64 v[60:61], v[6:7], s[18:19], v[60:61]
	v_add_f64 v[2:3], v[66:67], v[2:3]
	v_add_f64 v[12:13], v[64:65], v[12:13]
	v_fma_f64 v[58:59], v[152:153], -0.5, v[58:59]
	v_fma_f64 v[60:61], v[8:9], -0.5, v[60:61]
	v_add_f64 v[2:3], v[68:69], v[2:3]
	v_add_f64 v[12:13], v[70:71], v[12:13]
	;; [unrolled: 1-line block ×4, first 2 shown]
	v_add_f64 v[2:3], v[52:53], -v[150:151]
	v_add_f64 v[12:13], v[54:55], -v[156:157]
	v_add_f64 v[52:53], v[64:65], v[70:71]
	ds_write_b128 v255, v[162:165]
	v_mul_f64 v[54:55], v[2:3], s[26:27]
	v_mul_f64 v[56:57], v[12:13], s[26:27]
	v_add_f64 v[10:11], v[52:53], v[10:11]
	v_fma_f64 v[54:55], v[14:15], s[12:13], v[54:55]
	v_fma_f64 v[56:57], v[16:17], s[12:13], v[56:57]
	v_fma_f64 v[10:11], v[10:11], -0.5, v[62:63]
	v_fma_f64 v[54:55], v[18:19], s[4:5], v[54:55]
	v_fma_f64 v[56:57], v[20:21], s[4:5], v[56:57]
	;; [unrolled: 1-line block ×7, first 2 shown]
	v_add_f64 v[60:61], v[158:159], v[152:153]
	v_add_f64 v[148:149], v[54:55], -v[64:65]
	v_mul_f64 v[54:55], v[22:23], s[24:25]
	v_add_f64 v[150:151], v[66:67], v[56:57]
	v_add_f64 v[56:57], v[22:23], v[2:3]
	v_mul_f64 v[22:23], v[22:23], s[12:13]
	v_fma_f64 v[0:1], v[0:1], -0.5, v[60:61]
	v_fma_f64 v[64:65], v[64:65], 2.0, v[148:149]
	v_fma_f64 v[54:55], v[2:3], s[12:13], v[54:55]
	v_fma_f64 v[66:67], v[66:67], -2.0, v[150:151]
	v_fma_f64 v[54:55], v[18:19], s[20:21], v[54:55]
	v_fma_f64 v[70:71], v[14:15], s[14:15], v[54:55]
	v_add_f64 v[54:55], v[56:57], -v[14:15]
	v_fma_f64 v[56:57], v[52:53], s[22:23], v[160:161]
	v_fma_f64 v[14:15], v[14:15], s[24:25], -v[22:23]
	v_fma_f64 v[22:23], v[24:25], s[22:23], v[158:159]
	v_fma_f64 v[56:57], v[4:5], s[18:19], v[56:57]
	;; [unrolled: 1-line block ×4, first 2 shown]
	v_mul_f64 v[24:25], v[26:27], s[24:25]
	v_fma_f64 v[22:23], v[76:77], s[18:19], v[22:23]
	v_fma_f64 v[58:59], v[54:55], s[4:5], v[10:11]
	v_add_f64 v[10:11], v[86:87], -v[108:109]
	v_fma_f64 v[56:57], v[8:9], -0.5, v[56:57]
	v_fma_f64 v[2:3], v[2:3], s[14:15], v[14:15]
	v_fma_f64 v[18:19], v[152:153], -0.5, v[18:19]
	v_fma_f64 v[24:25], v[12:13], s[12:13], v[24:25]
	;; [unrolled: 2-line block ×3, first 2 shown]
	v_fma_f64 v[6:7], v[6:7], s[22:23], v[160:161]
	v_fma_f64 v[14:15], v[76:77], s[16:17], v[18:19]
	;; [unrolled: 1-line block ×4, first 2 shown]
	v_add_f64 v[18:19], v[96:97], -v[104:105]
	v_add_f64 v[62:63], v[70:71], v[56:57]
	v_fma_f64 v[6:7], v[52:53], s[18:19], v[6:7]
	v_mul_f64 v[52:53], v[26:27], s[12:13]
	v_fma_f64 v[24:25], v[16:17], s[14:15], v[24:25]
	v_fma_f64 v[70:71], v[70:71], -2.0, v[62:63]
	v_fma_f64 v[6:7], v[8:9], -0.5, v[6:7]
	v_add_f64 v[8:9], v[26:27], v[12:13]
	v_fma_f64 v[52:53], v[16:17], s[24:25], -v[52:53]
	v_add_f64 v[60:61], v[22:23], -v[24:25]
	v_add_f64 v[22:23], v[94:95], -v[106:107]
	v_fma_f64 v[4:5], v[4:5], s[16:17], v[6:7]
	v_add_f64 v[8:9], v[8:9], -v[16:17]
	v_fma_f64 v[20:21], v[20:21], s[4:5], v[52:53]
	v_add_f64 v[16:17], v[96:97], v[104:105]
	v_add_f64 v[96:97], v[98:99], v[100:101]
	v_fma_f64 v[68:69], v[24:25], 2.0, v[60:61]
	v_fma_f64 v[56:57], v[8:9], s[20:21], v[0:1]
	v_mul_f64 v[0:1], v[54:55], s[4:5]
	v_fma_f64 v[12:13], v[12:13], s[14:15], v[20:21]
	v_mul_f64 v[6:7], v[8:9], s[4:5]
	v_add_f64 v[8:9], v[86:87], v[108:109]
	v_add_f64 v[54:55], v[2:3], v[4:5]
	;; [unrolled: 1-line block ×4, first 2 shown]
	v_add_f64 v[86:87], v[98:99], -v[100:101]
	v_fma_f64 v[74:75], v[0:1], -2.0, v[58:59]
	v_add_f64 v[0:1], v[84:85], v[112:113]
	v_add_f64 v[52:53], v[14:15], -v[12:13]
	v_add_f64 v[106:107], v[92:93], -v[102:103]
	v_fma_f64 v[78:79], v[2:3], -2.0, v[54:55]
	v_add_f64 v[2:3], v[84:85], -v[112:113]
	v_add_f64 v[14:15], v[82:83], -v[110:111]
	v_fma_f64 v[72:73], v[6:7], 2.0, v[56:57]
	v_add_f64 v[6:7], v[80:81], -v[114:115]
	v_add_f64 v[94:95], v[8:9], v[0:1]
	v_fma_f64 v[76:77], v[12:13], 2.0, v[52:53]
	v_add_f64 v[12:13], v[82:83], v[110:111]
	v_fma_f64 v[82:83], v[4:5], s[22:23], v[90:91]
	v_mul_f64 v[24:25], v[2:3], s[26:27]
	v_fma_f64 v[80:81], v[0:1], s[22:23], v[88:89]
	v_mul_f64 v[26:27], v[6:7], s[26:27]
	v_add_f64 v[84:85], v[16:17], v[94:95]
	v_fma_f64 v[82:83], v[12:13], s[18:19], v[82:83]
	v_fma_f64 v[24:25], v[10:11], s[12:13], v[24:25]
	v_fma_f64 v[80:81], v[8:9], s[18:19], v[80:81]
	v_fma_f64 v[26:27], v[14:15], s[12:13], v[26:27]
	v_add_f64 v[84:85], v[98:99], v[84:85]
	v_add_f64 v[98:99], v[12:13], v[4:5]
	v_fma_f64 v[82:83], v[20:21], -0.5, v[82:83]
	v_fma_f64 v[24:25], v[18:19], s[4:5], v[24:25]
	v_fma_f64 v[80:81], v[16:17], -0.5, v[80:81]
	v_fma_f64 v[26:27], v[22:23], s[4:5], v[26:27]
	v_add_f64 v[84:85], v[100:101], v[84:85]
	v_add_f64 v[104:105], v[20:21], v[98:99]
	v_fma_f64 v[24:25], v[86:87], s[14:15], v[24:25]
	v_fma_f64 v[80:81], v[96:97], s[16:17], v[80:81]
	;; [unrolled: 1-line block ×3, first 2 shown]
	v_add_f64 v[84:85], v[88:89], v[84:85]
	v_add_f64 v[104:105], v[92:93], v[104:105]
	;; [unrolled: 1-line block ×3, first 2 shown]
	v_add_f64 v[80:81], v[80:81], -v[26:27]
	v_add_f64 v[100:101], v[102:103], v[104:105]
	v_mul_f64 v[102:103], v[86:87], s[24:25]
	v_add_f64 v[104:105], v[86:87], v[2:3]
	v_mul_f64 v[86:87], v[86:87], s[12:13]
	v_fma_f64 v[82:83], v[92:93], s[16:17], v[82:83]
	v_fma_f64 v[102:103], v[2:3], s[12:13], v[102:103]
	v_add_f64 v[82:83], v[24:25], v[82:83]
	v_fma_f64 v[102:103], v[18:19], s[20:21], v[102:103]
	v_fma_f64 v[108:109], v[10:11], s[14:15], v[102:103]
	v_add_f64 v[102:103], v[104:105], -v[10:11]
	v_fma_f64 v[104:105], v[92:93], s[22:23], v[90:91]
	v_fma_f64 v[10:11], v[10:11], s[24:25], -v[86:87]
	v_add_f64 v[86:87], v[90:91], v[100:101]
	v_fma_f64 v[100:101], v[96:97], s[22:23], v[88:89]
	v_fma_f64 v[104:105], v[4:5], s[18:19], v[104:105]
	;; [unrolled: 1-line block ×3, first 2 shown]
	v_add_f64 v[18:19], v[96:97], v[94:95]
	v_fma_f64 v[100:101], v[0:1], s[18:19], v[100:101]
	v_add_f64 v[94:95], v[92:93], v[98:99]
	v_fma_f64 v[104:105], v[20:21], -0.5, v[104:105]
	v_fma_f64 v[2:3], v[2:3], s[14:15], v[10:11]
	v_mul_f64 v[10:11], v[102:103], s[4:5]
	v_fma_f64 v[100:101], v[16:17], -0.5, v[100:101]
	v_fma_f64 v[104:105], v[12:13], s[16:17], v[104:105]
	v_fma_f64 v[12:13], v[12:13], s[22:23], v[90:91]
	v_add_f64 v[90:91], v[90:91], v[20:21]
	v_fma_f64 v[100:101], v[8:9], s[16:17], v[100:101]
	v_fma_f64 v[8:9], v[8:9], s[22:23], v[88:89]
	v_add_f64 v[88:89], v[88:89], v[16:17]
	v_add_f64 v[114:115], v[108:109], v[104:105]
	v_fma_f64 v[12:13], v[92:93], s[18:19], v[12:13]
	v_mul_f64 v[92:93], v[106:107], s[24:25]
	v_fma_f64 v[8:9], v[96:97], s[18:19], v[8:9]
	v_mul_f64 v[96:97], v[106:107], s[12:13]
	v_fma_f64 v[12:13], v[20:21], -0.5, v[12:13]
	v_fma_f64 v[92:93], v[6:7], s[12:13], v[92:93]
	v_fma_f64 v[8:9], v[16:17], -0.5, v[8:9]
	v_fma_f64 v[96:97], v[14:15], s[24:25], -v[96:97]
	v_add_f64 v[16:17], v[106:107], v[6:7]
	v_fma_f64 v[4:5], v[4:5], s[16:17], v[12:13]
	v_fma_f64 v[92:93], v[22:23], s[20:21], v[92:93]
	v_add_f64 v[12:13], v[130:131], v[142:143]
	v_fma_f64 v[0:1], v[0:1], s[16:17], v[8:9]
	v_fma_f64 v[22:23], v[22:23], s[4:5], v[96:97]
	;; [unrolled: 1-line block ×3, first 2 shown]
	v_add_f64 v[14:15], v[16:17], -v[14:15]
	v_fma_f64 v[16:17], v[18:19], -0.5, v[88:89]
	v_fma_f64 v[18:19], v[94:95], -0.5, v[90:91]
	v_fma_f64 v[6:7], v[6:7], s[14:15], v[22:23]
	v_fma_f64 v[94:95], v[108:109], -2.0, v[114:115]
	v_add_f64 v[22:23], v[134:135], -v[138:139]
	v_fma_f64 v[90:91], v[24:25], -2.0, v[82:83]
	v_add_f64 v[112:113], v[100:101], -v[20:21]
	v_mul_f64 v[8:9], v[14:15], s[4:5]
	v_fma_f64 v[104:105], v[14:15], s[20:21], v[16:17]
	v_fma_f64 v[106:107], v[102:103], s[4:5], v[18:19]
	v_add_f64 v[100:101], v[0:1], -v[6:7]
	v_add_f64 v[102:103], v[2:3], v[4:5]
	v_add_f64 v[0:1], v[124:125], v[144:145]
	;; [unrolled: 1-line block ×4, first 2 shown]
	v_fma_f64 v[92:93], v[20:21], 2.0, v[112:113]
	v_fma_f64 v[96:97], v[8:9], 2.0, v[104:105]
	v_add_f64 v[8:9], v[128:129], v[140:141]
	v_fma_f64 v[98:99], v[10:11], -2.0, v[106:107]
	v_fma_f64 v[110:111], v[2:3], -2.0, v[102:103]
	v_add_f64 v[2:3], v[124:125], -v[144:145]
	v_add_f64 v[10:11], v[128:129], -v[140:141]
	v_fma_f64 v[124:125], v[0:1], s[22:23], v[48:49]
	v_add_f64 v[14:15], v[130:131], -v[142:143]
	v_add_f64 v[18:19], v[132:133], -v[136:137]
	v_add_f64 v[128:129], v[8:9], v[0:1]
	v_add_f64 v[20:21], v[134:135], v[138:139]
	;; [unrolled: 1-line block ×3, first 2 shown]
	v_fma_f64 v[108:109], v[6:7], 2.0, v[100:101]
	v_add_f64 v[6:7], v[126:127], -v[146:147]
	v_fma_f64 v[124:125], v[8:9], s[18:19], v[124:125]
	v_fma_f64 v[126:127], v[4:5], s[22:23], v[50:51]
	v_add_f64 v[132:133], v[118:119], -v[120:121]
	v_add_f64 v[130:131], v[16:17], v[128:129]
	v_add_f64 v[134:135], v[118:119], v[120:121]
	v_add_f64 v[140:141], v[116:117], -v[122:123]
	v_add_f64 v[142:143], v[116:117], v[122:123]
	v_mul_f64 v[24:25], v[2:3], s[26:27]
	v_fma_f64 v[124:125], v[16:17], -0.5, v[124:125]
	v_fma_f64 v[126:127], v[12:13], s[18:19], v[126:127]
	v_fma_f64 v[88:89], v[26:27], 2.0, v[80:81]
	v_add_f64 v[130:131], v[118:119], v[130:131]
	v_add_f64 v[118:119], v[20:21], v[136:137]
	v_mul_f64 v[26:27], v[6:7], s[26:27]
	v_fma_f64 v[24:25], v[10:11], s[12:13], v[24:25]
	v_fma_f64 v[126:127], v[20:21], -0.5, v[126:127]
	v_add_f64 v[120:121], v[120:121], v[130:131]
	v_add_f64 v[138:139], v[116:117], v[118:119]
	v_fma_f64 v[116:117], v[134:135], s[16:17], v[124:125]
	v_mul_f64 v[124:125], v[132:133], s[24:25]
	v_mul_f64 v[130:131], v[132:133], s[12:13]
	v_fma_f64 v[24:25], v[18:19], s[4:5], v[24:25]
	v_fma_f64 v[118:119], v[142:143], s[16:17], v[126:127]
	v_add_f64 v[126:127], v[132:133], v[2:3]
	v_fma_f64 v[26:27], v[14:15], s[12:13], v[26:27]
	v_add_f64 v[122:123], v[122:123], v[138:139]
	v_add_f64 v[120:121], v[48:49], v[120:121]
	v_fma_f64 v[124:125], v[2:3], s[12:13], v[124:125]
	v_fma_f64 v[24:25], v[132:133], s[14:15], v[24:25]
	v_mul_f64 v[132:133], v[140:141], s[24:25]
	v_fma_f64 v[26:27], v[22:23], s[4:5], v[26:27]
	v_add_f64 v[122:123], v[50:51], v[122:123]
	v_fma_f64 v[124:125], v[18:19], s[20:21], v[124:125]
	v_add_f64 v[118:119], v[24:25], v[118:119]
	v_fma_f64 v[132:133], v[6:7], s[12:13], v[132:133]
	v_fma_f64 v[26:27], v[140:141], s[14:15], v[26:27]
	v_fma_f64 v[152:153], v[10:11], s[14:15], v[124:125]
	v_add_f64 v[124:125], v[126:127], -v[10:11]
	v_fma_f64 v[126:127], v[134:135], s[22:23], v[48:49]
	v_fma_f64 v[10:11], v[10:11], s[24:25], -v[130:131]
	v_fma_f64 v[130:131], v[142:143], s[22:23], v[50:51]
	v_fma_f64 v[132:133], v[22:23], s[20:21], v[132:133]
	v_add_f64 v[116:117], v[116:117], -v[26:27]
	v_fma_f64 v[126:127], v[0:1], s[18:19], v[126:127]
	v_fma_f64 v[10:11], v[18:19], s[4:5], v[10:11]
	;; [unrolled: 1-line block ×3, first 2 shown]
	v_add_f64 v[18:19], v[134:135], v[128:129]
	v_add_f64 v[128:129], v[142:143], v[136:137]
	v_fma_f64 v[126:127], v[16:17], -0.5, v[126:127]
	v_fma_f64 v[2:3], v[2:3], s[14:15], v[10:11]
	v_fma_f64 v[130:131], v[20:21], -0.5, v[130:131]
	v_mul_f64 v[10:11], v[124:125], s[4:5]
	v_fma_f64 v[126:127], v[8:9], s[16:17], v[126:127]
	v_fma_f64 v[8:9], v[8:9], s[22:23], v[48:49]
	;; [unrolled: 1-line block ×4, first 2 shown]
	v_add_f64 v[48:49], v[48:49], v[16:17]
	v_add_f64 v[50:51], v[50:51], v[20:21]
	v_fma_f64 v[8:9], v[134:135], s[18:19], v[8:9]
	v_mul_f64 v[134:135], v[140:141], s[12:13]
	v_fma_f64 v[12:13], v[142:143], s[18:19], v[12:13]
	v_add_f64 v[146:147], v[152:153], v[130:131]
	v_fma_f64 v[8:9], v[16:17], -0.5, v[8:9]
	v_fma_f64 v[134:135], v[14:15], s[24:25], -v[134:135]
	v_fma_f64 v[12:13], v[20:21], -0.5, v[12:13]
	v_add_f64 v[16:17], v[140:141], v[6:7]
	v_fma_f64 v[20:21], v[14:15], s[14:15], v[132:133]
	v_fma_f64 v[0:1], v[0:1], s[16:17], v[8:9]
	;; [unrolled: 1-line block ×4, first 2 shown]
	v_add_f64 v[14:15], v[16:17], -v[14:15]
	v_fma_f64 v[16:17], v[18:19], -0.5, v[48:49]
	v_fma_f64 v[18:19], v[128:129], -0.5, v[50:51]
	v_add_f64 v[144:145], v[126:127], -v[20:21]
	v_fma_f64 v[48:49], v[26:27], 2.0, v[116:117]
	v_fma_f64 v[50:51], v[24:25], -2.0, v[118:119]
	v_fma_f64 v[6:7], v[6:7], s[14:15], v[22:23]
	v_add_f64 v[134:135], v[2:3], v[4:5]
	v_mul_f64 v[8:9], v[14:15], s[4:5]
	v_fma_f64 v[136:137], v[14:15], s[20:21], v[16:17]
	v_fma_f64 v[138:139], v[124:125], s[4:5], v[18:19]
	v_fma_f64 v[124:125], v[20:21], 2.0, v[144:145]
	v_fma_f64 v[126:127], v[152:153], -2.0, v[146:147]
	v_add_f64 v[132:133], v[0:1], -v[6:7]
	v_fma_f64 v[142:143], v[2:3], -2.0, v[134:135]
	v_fma_f64 v[128:129], v[8:9], 2.0, v[136:137]
	v_fma_f64 v[130:131], v[10:11], -2.0, v[138:139]
	v_fma_f64 v[140:141], v[6:7], 2.0, v[132:133]
	ds_write_b128 v255, v[148:151] offset:816
	ds_write_b128 v255, v[60:63] offset:1632
	;; [unrolled: 1-line block ×26, first 2 shown]
	s_waitcnt lgkmcnt(0)
	; wave barrier
	s_waitcnt lgkmcnt(0)
	ds_read_b128 v[52:55], v255 offset:7344
	ds_read_b128 v[56:59], v255
	ds_read_b128 v[60:63], v255 offset:816
	ds_read_b128 v[64:67], v255 offset:14688
	;; [unrolled: 1-line block ×18, first 2 shown]
	buffer_load_dword v10, off, s[64:67], 0 offset:892 ; 4-byte Folded Reload
	buffer_load_dword v11, off, s[64:67], 0 offset:896 ; 4-byte Folded Reload
	;; [unrolled: 1-line block ×4, first 2 shown]
	ds_read_b128 v[128:131], v255 offset:4896
	ds_read_b128 v[132:135], v255 offset:5712
	s_waitcnt vmcnt(0) lgkmcnt(14)
	v_mul_f64 v[0:1], v[12:13], v[54:55]
	v_mul_f64 v[2:3], v[12:13], v[52:53]
	buffer_load_dword v12, off, s[64:67], 0 offset:876 ; 4-byte Folded Reload
	buffer_load_dword v13, off, s[64:67], 0 offset:880 ; 4-byte Folded Reload
	;; [unrolled: 1-line block ×4, first 2 shown]
	ds_read_b128 v[136:139], v255 offset:19584
	ds_read_b128 v[140:143], v255 offset:20400
	buffer_load_dword v18, off, s[64:67], 0 offset:924 ; 4-byte Folded Reload
	buffer_load_dword v19, off, s[64:67], 0 offset:928 ; 4-byte Folded Reload
	;; [unrolled: 1-line block ×8, first 2 shown]
	v_fma_f64 v[8:9], v[10:11], v[52:53], v[0:1]
	v_fma_f64 v[0:1], v[10:11], v[54:55], -v[2:3]
	s_waitcnt vmcnt(8)
	v_mul_f64 v[4:5], v[14:15], v[66:67]
	v_mul_f64 v[6:7], v[14:15], v[64:65]
	s_waitcnt vmcnt(4)
	v_mul_f64 v[2:3], v[20:21], v[74:75]
	v_mul_f64 v[10:11], v[20:21], v[72:73]
	s_waitcnt vmcnt(0)
	v_mul_f64 v[14:15], v[24:25], v[68:69]
	v_fma_f64 v[4:5], v[12:13], v[64:65], v[4:5]
	v_fma_f64 v[6:7], v[12:13], v[66:67], -v[6:7]
	ds_read_b128 v[52:55], v255 offset:13056
	ds_read_b128 v[64:67], v255 offset:13872
	buffer_load_dword v32, off, s[64:67], 0 offset:956 ; 4-byte Folded Reload
	buffer_load_dword v33, off, s[64:67], 0 offset:960 ; 4-byte Folded Reload
	;; [unrolled: 1-line block ×4, first 2 shown]
	v_fma_f64 v[16:17], v[18:19], v[72:73], v[2:3]
	v_fma_f64 v[18:19], v[18:19], v[74:75], -v[10:11]
	ds_read_b128 v[72:75], v255 offset:21216
	buffer_load_dword v28, off, s[64:67], 0 offset:940 ; 4-byte Folded Reload
	buffer_load_dword v29, off, s[64:67], 0 offset:944 ; 4-byte Folded Reload
	;; [unrolled: 1-line block ×4, first 2 shown]
	v_mul_f64 v[12:13], v[24:25], v[70:71]
	v_fma_f64 v[14:15], v[22:23], v[70:71], -v[14:15]
	v_fma_f64 v[20:21], v[22:23], v[68:69], v[12:13]
	s_waitcnt vmcnt(4)
	v_mul_f64 v[2:3], v[34:35], v[78:79]
	v_mul_f64 v[10:11], v[34:35], v[76:77]
	buffer_load_dword v34, off, s[64:67], 0 offset:988 ; 4-byte Folded Reload
	buffer_load_dword v35, off, s[64:67], 0 offset:992 ; 4-byte Folded Reload
	;; [unrolled: 1-line block ×4, first 2 shown]
	s_waitcnt vmcnt(4) lgkmcnt(14)
	v_mul_f64 v[12:13], v[30:31], v[90:91]
	v_mul_f64 v[22:23], v[30:31], v[88:89]
	v_fma_f64 v[26:27], v[32:33], v[76:77], v[2:3]
	v_fma_f64 v[68:69], v[32:33], v[78:79], -v[10:11]
	buffer_load_dword v30, off, s[64:67], 0 offset:972 ; 4-byte Folded Reload
	buffer_load_dword v31, off, s[64:67], 0 offset:976 ; 4-byte Folded Reload
	;; [unrolled: 1-line block ×4, first 2 shown]
	v_fma_f64 v[70:71], v[28:29], v[88:89], v[12:13]
	v_fma_f64 v[76:77], v[28:29], v[90:91], -v[22:23]
	s_waitcnt vmcnt(4)
	v_mul_f64 v[24:25], v[36:37], v[98:99]
	v_mul_f64 v[2:3], v[36:37], v[96:97]
	buffer_load_dword v36, off, s[64:67], 0 offset:1004 ; 4-byte Folded Reload
	buffer_load_dword v37, off, s[64:67], 0 offset:1008 ; 4-byte Folded Reload
	;; [unrolled: 1-line block ×4, first 2 shown]
	s_waitcnt vmcnt(4)
	v_mul_f64 v[10:11], v[32:33], v[94:95]
	v_mul_f64 v[12:13], v[32:33], v[92:93]
	v_fma_f64 v[78:79], v[34:35], v[96:97], v[24:25]
	v_fma_f64 v[88:89], v[34:35], v[98:99], -v[2:3]
	buffer_load_dword v32, off, s[64:67], 0 offset:1020 ; 4-byte Folded Reload
	buffer_load_dword v33, off, s[64:67], 0 offset:1024 ; 4-byte Folded Reload
	;; [unrolled: 1-line block ×4, first 2 shown]
	v_fma_f64 v[90:91], v[30:31], v[92:93], v[10:11]
	v_fma_f64 v[92:93], v[30:31], v[94:95], -v[12:13]
	buffer_load_dword v28, off, s[64:67], 0 offset:1036 ; 4-byte Folded Reload
	buffer_load_dword v29, off, s[64:67], 0 offset:1040 ; 4-byte Folded Reload
	;; [unrolled: 1-line block ×4, first 2 shown]
	s_waitcnt vmcnt(8)
	v_mul_f64 v[22:23], v[38:39], v[102:103]
	v_mul_f64 v[2:3], v[38:39], v[100:101]
	v_fma_f64 v[94:95], v[36:37], v[100:101], v[22:23]
	v_fma_f64 v[96:97], v[36:37], v[102:103], -v[2:3]
	s_waitcnt vmcnt(4) lgkmcnt(11)
	v_mul_f64 v[10:11], v[34:35], v[114:115]
	v_mul_f64 v[12:13], v[34:35], v[112:113]
	buffer_load_dword v34, off, s[64:67], 0 offset:1052 ; 4-byte Folded Reload
	buffer_load_dword v35, off, s[64:67], 0 offset:1056 ; 4-byte Folded Reload
	buffer_load_dword v36, off, s[64:67], 0 offset:1060 ; 4-byte Folded Reload
	buffer_load_dword v37, off, s[64:67], 0 offset:1064 ; 4-byte Folded Reload
	s_waitcnt vmcnt(4) lgkmcnt(9)
	v_mul_f64 v[24:25], v[30:31], v[122:123]
	v_mul_f64 v[22:23], v[30:31], v[120:121]
	v_fma_f64 v[98:99], v[32:33], v[112:113], v[10:11]
	v_fma_f64 v[100:101], v[32:33], v[114:115], -v[12:13]
	buffer_load_dword v30, off, s[64:67], 0 offset:1068 ; 4-byte Folded Reload
	buffer_load_dword v31, off, s[64:67], 0 offset:1072 ; 4-byte Folded Reload
	;; [unrolled: 1-line block ×4, first 2 shown]
	v_fma_f64 v[102:103], v[28:29], v[120:121], v[24:25]
	v_fma_f64 v[112:113], v[28:29], v[122:123], -v[22:23]
	s_waitcnt vmcnt(4)
	v_mul_f64 v[2:3], v[36:37], v[118:119]
	v_mul_f64 v[10:11], v[36:37], v[116:117]
	buffer_load_dword v36, off, s[64:67], 0 offset:1084 ; 4-byte Folded Reload
	buffer_load_dword v37, off, s[64:67], 0 offset:1088 ; 4-byte Folded Reload
	buffer_load_dword v38, off, s[64:67], 0 offset:1092 ; 4-byte Folded Reload
	buffer_load_dword v39, off, s[64:67], 0 offset:1096 ; 4-byte Folded Reload
	s_waitcnt vmcnt(4) lgkmcnt(8)
	v_mul_f64 v[12:13], v[32:33], v[126:127]
	v_mul_f64 v[22:23], v[32:33], v[124:125]
	v_fma_f64 v[114:115], v[34:35], v[116:117], v[2:3]
	v_fma_f64 v[116:117], v[34:35], v[118:119], -v[10:11]
	buffer_load_dword v32, off, s[64:67], 0 offset:1100 ; 4-byte Folded Reload
	buffer_load_dword v33, off, s[64:67], 0 offset:1104 ; 4-byte Folded Reload
	buffer_load_dword v34, off, s[64:67], 0 offset:1108 ; 4-byte Folded Reload
	buffer_load_dword v35, off, s[64:67], 0 offset:1112 ; 4-byte Folded Reload
	v_fma_f64 v[118:119], v[30:31], v[124:125], v[12:13]
	v_fma_f64 v[120:121], v[30:31], v[126:127], -v[22:23]
	buffer_load_dword v28, off, s[64:67], 0 offset:1116 ; 4-byte Folded Reload
	buffer_load_dword v29, off, s[64:67], 0 offset:1120 ; 4-byte Folded Reload
	;; [unrolled: 1-line block ×4, first 2 shown]
	s_waitcnt vmcnt(8) lgkmcnt(4)
	v_mul_f64 v[2:3], v[38:39], v[138:139]
	v_mul_f64 v[10:11], v[38:39], v[136:137]
	v_add_f64 v[38:39], v[82:83], v[68:69]
	v_fma_f64 v[122:123], v[36:37], v[136:137], v[2:3]
	v_fma_f64 v[124:125], v[36:37], v[138:139], -v[10:11]
	s_waitcnt vmcnt(4) lgkmcnt(2)
	v_mul_f64 v[12:13], v[34:35], v[52:53]
	s_waitcnt lgkmcnt(1)
	v_mul_f64 v[10:11], v[42:43], v[66:67]
	v_mul_f64 v[24:25], v[34:35], v[54:55]
	v_add_f64 v[36:37], v[68:69], -v[76:77]
	s_waitcnt vmcnt(0)
	v_mul_f64 v[22:23], v[30:31], v[142:143]
	v_mul_f64 v[2:3], v[30:31], v[140:141]
	v_fma_f64 v[136:137], v[32:33], v[54:55], -v[12:13]
	v_mul_f64 v[12:13], v[42:43], v[64:65]
	v_fma_f64 v[126:127], v[32:33], v[52:53], v[24:25]
	s_waitcnt lgkmcnt(0)
	v_mul_f64 v[24:25], v[46:47], v[72:73]
	v_add_f64 v[32:33], v[18:19], -v[14:15]
	v_add_f64 v[42:43], v[26:27], -v[70:71]
	v_fma_f64 v[138:139], v[28:29], v[140:141], v[22:23]
	v_add_f64 v[22:23], v[8:9], v[4:5]
	v_fma_f64 v[140:141], v[28:29], v[142:143], -v[2:3]
	v_mul_f64 v[2:3], v[46:47], v[74:75]
	v_fma_f64 v[142:143], v[40:41], v[64:65], v[10:11]
	v_add_f64 v[10:11], v[56:57], v[8:9]
	v_fma_f64 v[144:145], v[40:41], v[66:67], -v[12:13]
	v_add_f64 v[12:13], v[0:1], v[6:7]
	v_add_f64 v[28:29], v[0:1], -v[6:7]
	v_fma_f64 v[22:23], v[22:23], -0.5, v[56:57]
	v_fma_f64 v[148:149], v[44:45], v[74:75], -v[24:25]
	v_fma_f64 v[146:147], v[44:45], v[72:73], v[2:3]
	v_add_f64 v[2:3], v[58:59], v[0:1]
	v_add_f64 v[0:1], v[10:11], v[4:5]
	;; [unrolled: 1-line block ×3, first 2 shown]
	v_fma_f64 v[12:13], v[12:13], -0.5, v[58:59]
	v_add_f64 v[24:25], v[8:9], -v[4:5]
	v_fma_f64 v[4:5], v[28:29], s[0:1], v[22:23]
	v_fma_f64 v[8:9], v[28:29], s[2:3], v[22:23]
	v_add_f64 v[22:23], v[60:61], v[16:17]
	v_add_f64 v[28:29], v[18:19], v[14:15]
	;; [unrolled: 1-line block ×3, first 2 shown]
	v_fma_f64 v[30:31], v[10:11], -0.5, v[60:61]
	v_add_f64 v[18:19], v[62:63], v[18:19]
	v_fma_f64 v[6:7], v[24:25], s[2:3], v[12:13]
	v_fma_f64 v[10:11], v[24:25], s[0:1], v[12:13]
	v_add_f64 v[52:53], v[94:95], v[98:99]
	v_add_f64 v[12:13], v[22:23], v[20:21]
	;; [unrolled: 1-line block ×3, first 2 shown]
	v_fma_f64 v[24:25], v[28:29], -0.5, v[62:63]
	v_add_f64 v[28:29], v[16:17], -v[20:21]
	v_fma_f64 v[16:17], v[32:33], s[0:1], v[30:31]
	v_fma_f64 v[20:21], v[32:33], s[2:3], v[30:31]
	v_add_f64 v[30:31], v[80:81], v[26:27]
	v_add_f64 v[32:33], v[68:69], v[76:77]
	;; [unrolled: 1-line block ×3, first 2 shown]
	v_fma_f64 v[34:35], v[22:23], -0.5, v[80:81]
	v_add_f64 v[26:27], v[38:39], v[76:77]
	v_fma_f64 v[18:19], v[28:29], s[2:3], v[24:25]
	v_fma_f64 v[22:23], v[28:29], s[0:1], v[24:25]
	v_add_f64 v[38:39], v[88:89], v[92:93]
	v_add_f64 v[24:25], v[30:31], v[70:71]
	;; [unrolled: 1-line block ×3, first 2 shown]
	v_fma_f64 v[40:41], v[32:33], -0.5, v[82:83]
	v_add_f64 v[58:59], v[104:105], v[94:95]
	v_add_f64 v[60:61], v[96:97], v[100:101]
	v_fma_f64 v[28:29], v[36:37], s[0:1], v[34:35]
	v_fma_f64 v[32:33], v[36:37], s[2:3], v[34:35]
	v_add_f64 v[46:47], v[88:89], -v[92:93]
	v_fma_f64 v[54:55], v[38:39], -0.5, v[86:87]
	v_fma_f64 v[44:45], v[30:31], -0.5, v[84:85]
	v_fma_f64 v[30:31], v[42:43], s[2:3], v[40:41]
	v_fma_f64 v[34:35], v[42:43], s[0:1], v[40:41]
	v_add_f64 v[42:43], v[86:87], v[88:89]
	v_add_f64 v[56:57], v[78:79], -v[90:91]
	v_fma_f64 v[62:63], v[52:53], -0.5, v[104:105]
	v_add_f64 v[64:65], v[96:97], -v[100:101]
	v_add_f64 v[52:53], v[58:59], v[98:99]
	v_add_f64 v[58:59], v[102:103], v[114:115]
	v_fma_f64 v[66:67], v[60:61], -0.5, v[106:107]
	v_add_f64 v[68:69], v[94:95], -v[98:99]
	v_add_f64 v[70:71], v[112:113], v[116:117]
	v_add_f64 v[76:77], v[110:111], v[112:113]
	;; [unrolled: 1-line block ×3, first 2 shown]
	v_fma_f64 v[40:41], v[46:47], s[0:1], v[44:45]
	v_fma_f64 v[44:45], v[46:47], s[2:3], v[44:45]
	v_add_f64 v[38:39], v[42:43], v[92:93]
	v_fma_f64 v[42:43], v[56:57], s[2:3], v[54:55]
	v_fma_f64 v[46:47], v[56:57], s[0:1], v[54:55]
	;; [unrolled: 1-line block ×4, first 2 shown]
	v_fma_f64 v[72:73], v[58:59], -0.5, v[108:109]
	v_add_f64 v[74:75], v[112:113], -v[116:117]
	v_fma_f64 v[58:59], v[68:69], s[2:3], v[66:67]
	v_fma_f64 v[62:63], v[68:69], s[0:1], v[66:67]
	v_add_f64 v[78:79], v[118:119], v[122:123]
	v_fma_f64 v[80:81], v[70:71], -0.5, v[110:111]
	v_add_f64 v[82:83], v[102:103], -v[114:115]
	v_add_f64 v[66:67], v[76:77], v[116:117]
	v_add_f64 v[76:77], v[120:121], v[124:125]
	;; [unrolled: 1-line block ×4, first 2 shown]
	v_fma_f64 v[68:69], v[74:75], s[0:1], v[72:73]
	v_fma_f64 v[72:73], v[74:75], s[2:3], v[72:73]
	v_add_f64 v[84:85], v[128:129], v[118:119]
	v_fma_f64 v[78:79], v[78:79], -0.5, v[128:129]
	v_add_f64 v[86:87], v[120:121], -v[124:125]
	v_fma_f64 v[70:71], v[82:83], s[2:3], v[80:81]
	v_add_f64 v[88:89], v[126:127], v[138:139]
	v_fma_f64 v[74:75], v[82:83], s[0:1], v[80:81]
	v_add_f64 v[82:83], v[130:131], v[120:121]
	v_fma_f64 v[90:91], v[76:77], -0.5, v[130:131]
	v_add_f64 v[92:93], v[118:119], -v[122:123]
	v_add_f64 v[94:95], v[132:133], v[126:127]
	v_add_f64 v[64:65], v[108:109], v[102:103]
	;; [unrolled: 1-line block ×4, first 2 shown]
	v_fma_f64 v[80:81], v[86:87], s[0:1], v[78:79]
	v_fma_f64 v[96:97], v[88:89], -0.5, v[132:133]
	v_add_f64 v[98:99], v[136:137], -v[140:141]
	v_fma_f64 v[84:85], v[86:87], s[2:3], v[78:79]
	v_add_f64 v[78:79], v[82:83], v[124:125]
	v_fma_f64 v[82:83], v[92:93], s[2:3], v[90:91]
	v_add_f64 v[100:101], v[136:137], v[140:141]
	;; [unrolled: 2-line block ×3, first 2 shown]
	v_add_f64 v[90:91], v[142:143], v[146:147]
	v_add_f64 v[94:95], v[144:145], v[148:149]
	v_add_f64 v[64:65], v[64:65], v[114:115]
	v_fma_f64 v[92:93], v[98:99], s[0:1], v[96:97]
	v_fma_f64 v[96:97], v[98:99], s[2:3], v[96:97]
	v_add_f64 v[98:99], v[134:135], v[136:137]
	v_fma_f64 v[100:101], v[100:101], -0.5, v[134:135]
	v_add_f64 v[102:103], v[126:127], -v[138:139]
	v_add_f64 v[104:105], v[48:49], v[142:143]
	v_fma_f64 v[106:107], v[90:91], -0.5, v[48:49]
	v_add_f64 v[108:109], v[144:145], -v[148:149]
	;; [unrolled: 3-line block ×3, first 2 shown]
	v_add_f64 v[90:91], v[98:99], v[140:141]
	v_fma_f64 v[94:95], v[102:103], s[2:3], v[100:101]
	v_fma_f64 v[98:99], v[102:103], s[0:1], v[100:101]
	v_add_f64 v[48:49], v[104:105], v[146:147]
	v_fma_f64 v[100:101], v[108:109], s[0:1], v[106:107]
	v_fma_f64 v[104:105], v[108:109], s[2:3], v[106:107]
	;; [unrolled: 3-line block ×3, first 2 shown]
	ds_write_b128 v255, v[0:3]
	ds_write_b128 v255, v[4:7] offset:7344
	ds_write_b128 v255, v[8:11] offset:14688
	;; [unrolled: 1-line block ×26, first 2 shown]
	s_waitcnt lgkmcnt(0)
	; wave barrier
	s_waitcnt lgkmcnt(0)
	ds_read_b128 v[0:3], v255
	buffer_load_dword v4, off, s[64:67], 0 offset:124 ; 4-byte Folded Reload
	buffer_load_dword v5, off, s[64:67], 0 offset:128 ; 4-byte Folded Reload
	s_mov_b32 s2, 0xdee863a6
	s_mov_b32 s3, 0x3f47cbf1
	s_waitcnt vmcnt(1)
	v_mov_b32_e32 v14, v4
	s_waitcnt vmcnt(0)
	ds_read_b128 v[4:7], v255 offset:1296
	buffer_load_dword v18, off, s[64:67], 0 offset:164 ; 4-byte Folded Reload
	buffer_load_dword v19, off, s[64:67], 0 offset:168 ; 4-byte Folded Reload
	;; [unrolled: 1-line block ×4, first 2 shown]
	buffer_load_dword v17, off, s[64:67], 0 ; 4-byte Folded Reload
	v_mad_u64_u32 v[8:9], s[0:1], s10, v14, 0
	s_waitcnt vmcnt(1) lgkmcnt(1)
	v_mul_f64 v[10:11], v[20:21], v[2:3]
	v_mul_f64 v[12:13], v[20:21], v[0:1]
	v_fma_f64 v[0:1], v[18:19], v[0:1], v[10:11]
	v_fma_f64 v[2:3], v[18:19], v[2:3], -v[12:13]
	buffer_load_dword v19, off, s[64:67], 0 offset:388 ; 4-byte Folded Reload
	buffer_load_dword v20, off, s[64:67], 0 offset:392 ; 4-byte Folded Reload
	buffer_load_dword v21, off, s[64:67], 0 offset:396 ; 4-byte Folded Reload
	buffer_load_dword v22, off, s[64:67], 0 offset:400 ; 4-byte Folded Reload
	v_mad_u64_u32 v[14:15], s[0:1], s11, v14, v[9:10]
	s_waitcnt vmcnt(4)
	v_mad_u64_u32 v[15:16], s[0:1], s8, v17, 0
	v_mov_b32_e32 v9, v14
	v_mul_f64 v[0:1], v[0:1], s[2:3]
	v_mov_b32_e32 v10, v16
	v_mad_u64_u32 v[10:11], s[0:1], s9, v17, v[10:11]
	v_mul_f64 v[2:3], v[2:3], s[2:3]
	v_lshlrev_b64 v[8:9], 4, v[8:9]
	v_mov_b32_e32 v16, v10
	v_mov_b32_e32 v14, s7
	v_add_co_u32_e64 v17, s[0:1], s6, v8
	v_addc_co_u32_e64 v18, s[0:1], v14, v9, s[0:1]
	v_lshlrev_b64 v[8:9], 4, v[15:16]
	v_add_co_u32_e64 v14, s[0:1], v17, v8
	v_addc_co_u32_e64 v15, s[0:1], v18, v9, s[0:1]
	global_store_dwordx4 v[14:15], v[0:3], off
	s_mul_i32 s0, s9, 0x51
	s_mul_hi_u32 s1, s8, 0x51
	s_add_i32 s1, s1, s0
	s_mul_i32 s0, s8, 0x51
	s_lshl_b64 s[4:5], s[0:1], 4
	v_mov_b32_e32 v26, s5
	v_add_co_u32_e64 v14, s[0:1], s4, v14
	v_addc_co_u32_e64 v15, s[0:1], v15, v26, s[0:1]
	s_waitcnt vmcnt(1) lgkmcnt(0)
	v_mul_f64 v[10:11], v[21:22], v[6:7]
	v_mul_f64 v[12:13], v[21:22], v[4:5]
	v_fma_f64 v[10:11], v[19:20], v[4:5], v[10:11]
	v_fma_f64 v[12:13], v[19:20], v[6:7], -v[12:13]
	ds_read_b128 v[4:7], v255 offset:2592
	v_mul_f64 v[0:1], v[10:11], s[2:3]
	ds_read_b128 v[8:11], v255 offset:3888
	buffer_load_dword v18, off, s[64:67], 0 offset:372 ; 4-byte Folded Reload
	buffer_load_dword v19, off, s[64:67], 0 offset:376 ; 4-byte Folded Reload
	;; [unrolled: 1-line block ×4, first 2 shown]
	v_mul_f64 v[2:3], v[12:13], s[2:3]
	s_waitcnt vmcnt(0) lgkmcnt(1)
	v_mul_f64 v[12:13], v[20:21], v[6:7]
	v_mul_f64 v[16:17], v[20:21], v[4:5]
	buffer_load_dword v20, off, s[64:67], 0 offset:356 ; 4-byte Folded Reload
	buffer_load_dword v21, off, s[64:67], 0 offset:360 ; 4-byte Folded Reload
	;; [unrolled: 1-line block ×4, first 2 shown]
	v_fma_f64 v[4:5], v[18:19], v[4:5], v[12:13]
	v_fma_f64 v[12:13], v[18:19], v[6:7], -v[16:17]
	global_store_dwordx4 v[14:15], v[0:3], off
	v_add_co_u32_e64 v14, s[0:1], s4, v14
	v_addc_co_u32_e64 v15, s[0:1], v15, v26, s[0:1]
	v_mul_f64 v[0:1], v[4:5], s[2:3]
	ds_read_b128 v[4:7], v255 offset:5184
	v_mul_f64 v[2:3], v[12:13], s[2:3]
	s_waitcnt vmcnt(1) lgkmcnt(1)
	v_mul_f64 v[16:17], v[22:23], v[10:11]
	v_mul_f64 v[18:19], v[22:23], v[8:9]
	v_fma_f64 v[12:13], v[20:21], v[8:9], v[16:17]
	v_fma_f64 v[16:17], v[20:21], v[10:11], -v[18:19]
	ds_read_b128 v[8:11], v255 offset:6480
	buffer_load_dword v22, off, s[64:67], 0 offset:340 ; 4-byte Folded Reload
	buffer_load_dword v23, off, s[64:67], 0 offset:344 ; 4-byte Folded Reload
	;; [unrolled: 1-line block ×4, first 2 shown]
	s_waitcnt vmcnt(0) lgkmcnt(1)
	v_mul_f64 v[18:19], v[24:25], v[6:7]
	v_mul_f64 v[20:21], v[24:25], v[4:5]
	global_store_dwordx4 v[14:15], v[0:3], off
	v_add_co_u32_e64 v14, s[0:1], s4, v14
	v_mul_f64 v[0:1], v[12:13], s[2:3]
	v_mul_f64 v[2:3], v[16:17], s[2:3]
	v_addc_co_u32_e64 v15, s[0:1], v15, v26, s[0:1]
	v_fma_f64 v[4:5], v[22:23], v[4:5], v[18:19]
	v_fma_f64 v[12:13], v[22:23], v[6:7], -v[20:21]
	buffer_load_dword v20, off, s[64:67], 0 offset:292 ; 4-byte Folded Reload
	buffer_load_dword v21, off, s[64:67], 0 offset:296 ; 4-byte Folded Reload
	buffer_load_dword v22, off, s[64:67], 0 offset:300 ; 4-byte Folded Reload
	buffer_load_dword v23, off, s[64:67], 0 offset:304 ; 4-byte Folded Reload
	s_waitcnt vmcnt(0) lgkmcnt(0)
	v_mul_f64 v[16:17], v[22:23], v[10:11]
	v_mul_f64 v[18:19], v[22:23], v[8:9]
	global_store_dwordx4 v[14:15], v[0:3], off
	v_add_co_u32_e64 v14, s[0:1], s4, v14
	v_mul_f64 v[0:1], v[4:5], s[2:3]
	ds_read_b128 v[4:7], v255 offset:7776
	v_mul_f64 v[2:3], v[12:13], s[2:3]
	v_fma_f64 v[12:13], v[20:21], v[8:9], v[16:17]
	v_fma_f64 v[16:17], v[20:21], v[10:11], -v[18:19]
	ds_read_b128 v[8:11], v255 offset:9072
	buffer_load_dword v22, off, s[64:67], 0 offset:212 ; 4-byte Folded Reload
	buffer_load_dword v23, off, s[64:67], 0 offset:216 ; 4-byte Folded Reload
	buffer_load_dword v24, off, s[64:67], 0 offset:220 ; 4-byte Folded Reload
	buffer_load_dword v25, off, s[64:67], 0 offset:224 ; 4-byte Folded Reload
	v_addc_co_u32_e64 v15, s[0:1], v15, v26, s[0:1]
	global_store_dwordx4 v[14:15], v[0:3], off
	s_nop 0
	v_mul_f64 v[0:1], v[12:13], s[2:3]
	v_mul_f64 v[2:3], v[16:17], s[2:3]
	v_add_co_u32_e64 v14, s[0:1], s4, v14
	v_addc_co_u32_e64 v15, s[0:1], v15, v26, s[0:1]
	s_waitcnt vmcnt(1) lgkmcnt(1)
	v_mul_f64 v[18:19], v[24:25], v[6:7]
	v_mul_f64 v[20:21], v[24:25], v[4:5]
	v_fma_f64 v[4:5], v[22:23], v[4:5], v[18:19]
	v_fma_f64 v[12:13], v[22:23], v[6:7], -v[20:21]
	buffer_load_dword v20, off, s[64:67], 0 offset:148 ; 4-byte Folded Reload
	buffer_load_dword v21, off, s[64:67], 0 offset:152 ; 4-byte Folded Reload
	buffer_load_dword v22, off, s[64:67], 0 offset:156 ; 4-byte Folded Reload
	buffer_load_dword v23, off, s[64:67], 0 offset:160 ; 4-byte Folded Reload
	s_waitcnt vmcnt(0) lgkmcnt(0)
	v_mul_f64 v[16:17], v[22:23], v[10:11]
	v_mul_f64 v[18:19], v[22:23], v[8:9]
	global_store_dwordx4 v[14:15], v[0:3], off
	v_add_co_u32_e64 v14, s[0:1], s4, v14
	v_mul_f64 v[0:1], v[4:5], s[2:3]
	ds_read_b128 v[4:7], v255 offset:10368
	v_mul_f64 v[2:3], v[12:13], s[2:3]
	v_fma_f64 v[12:13], v[20:21], v[8:9], v[16:17]
	v_fma_f64 v[16:17], v[20:21], v[10:11], -v[18:19]
	ds_read_b128 v[8:11], v255 offset:11664
	buffer_load_dword v22, off, s[64:67], 0 offset:132 ; 4-byte Folded Reload
	buffer_load_dword v23, off, s[64:67], 0 offset:136 ; 4-byte Folded Reload
	buffer_load_dword v24, off, s[64:67], 0 offset:140 ; 4-byte Folded Reload
	buffer_load_dword v25, off, s[64:67], 0 offset:144 ; 4-byte Folded Reload
	v_addc_co_u32_e64 v15, s[0:1], v15, v26, s[0:1]
	global_store_dwordx4 v[14:15], v[0:3], off
	s_nop 0
	v_mul_f64 v[0:1], v[12:13], s[2:3]
	v_mul_f64 v[2:3], v[16:17], s[2:3]
	v_add_co_u32_e64 v14, s[0:1], s4, v14
	v_addc_co_u32_e64 v15, s[0:1], v15, v26, s[0:1]
	s_waitcnt vmcnt(1) lgkmcnt(1)
	v_mul_f64 v[18:19], v[24:25], v[6:7]
	v_mul_f64 v[20:21], v[24:25], v[4:5]
	;; [unrolled: 31-line block ×4, first 2 shown]
	v_fma_f64 v[4:5], v[22:23], v[4:5], v[18:19]
	v_fma_f64 v[12:13], v[22:23], v[6:7], -v[20:21]
	buffer_load_dword v20, off, s[64:67], 0 offset:308 ; 4-byte Folded Reload
	buffer_load_dword v21, off, s[64:67], 0 offset:312 ; 4-byte Folded Reload
	;; [unrolled: 1-line block ×4, first 2 shown]
	s_waitcnt vmcnt(0) lgkmcnt(0)
	v_mul_f64 v[16:17], v[22:23], v[10:11]
	v_mul_f64 v[18:19], v[22:23], v[8:9]
	global_store_dwordx4 v[14:15], v[0:3], off
	v_add_co_u32_e64 v22, s[0:1], s4, v14
	v_mul_f64 v[0:1], v[4:5], s[2:3]
	ds_read_b128 v[4:7], v255 offset:18144
	v_mul_f64 v[2:3], v[12:13], s[2:3]
	v_fma_f64 v[12:13], v[20:21], v[8:9], v[16:17]
	v_fma_f64 v[16:17], v[20:21], v[10:11], -v[18:19]
	ds_read_b128 v[8:11], v255 offset:19440
	buffer_load_dword v27, off, s[64:67], 0 offset:180 ; 4-byte Folded Reload
	buffer_load_dword v28, off, s[64:67], 0 offset:184 ; 4-byte Folded Reload
	buffer_load_dword v29, off, s[64:67], 0 offset:188 ; 4-byte Folded Reload
	buffer_load_dword v30, off, s[64:67], 0 offset:192 ; 4-byte Folded Reload
	v_addc_co_u32_e64 v23, s[0:1], v15, v26, s[0:1]
	global_store_dwordx4 v[22:23], v[0:3], off
	s_nop 0
	v_mul_f64 v[0:1], v[12:13], s[2:3]
	ds_read_b128 v[12:15], v255 offset:20736
	v_mul_f64 v[2:3], v[16:17], s[2:3]
	v_add_co_u32_e64 v22, s[0:1], s4, v22
	v_addc_co_u32_e64 v23, s[0:1], v23, v26, s[0:1]
	s_waitcnt vmcnt(1) lgkmcnt(2)
	v_mul_f64 v[18:19], v[29:30], v[6:7]
	v_mul_f64 v[20:21], v[29:30], v[4:5]
	v_fma_f64 v[4:5], v[27:28], v[4:5], v[18:19]
	v_fma_f64 v[6:7], v[27:28], v[6:7], -v[20:21]
	buffer_load_dword v27, off, s[64:67], 0 offset:196 ; 4-byte Folded Reload
	buffer_load_dword v28, off, s[64:67], 0 offset:200 ; 4-byte Folded Reload
	;; [unrolled: 1-line block ×4, first 2 shown]
	s_waitcnt vmcnt(0) lgkmcnt(1)
	v_mul_f64 v[16:17], v[29:30], v[10:11]
	v_mul_f64 v[18:19], v[29:30], v[8:9]
	buffer_load_dword v29, off, s[64:67], 0 offset:276 ; 4-byte Folded Reload
	buffer_load_dword v30, off, s[64:67], 0 offset:280 ; 4-byte Folded Reload
	;; [unrolled: 1-line block ×4, first 2 shown]
	s_waitcnt vmcnt(0) lgkmcnt(0)
	v_mul_f64 v[20:21], v[31:32], v[14:15]
	v_mul_f64 v[24:25], v[31:32], v[12:13]
	global_store_dwordx4 v[22:23], v[0:3], off
	s_nop 0
	v_mul_f64 v[0:1], v[4:5], s[2:3]
	v_mul_f64 v[2:3], v[6:7], s[2:3]
	v_fma_f64 v[4:5], v[27:28], v[8:9], v[16:17]
	v_fma_f64 v[6:7], v[27:28], v[10:11], -v[18:19]
	v_fma_f64 v[8:9], v[29:30], v[12:13], v[20:21]
	v_fma_f64 v[10:11], v[29:30], v[14:15], -v[24:25]
	v_add_co_u32_e64 v12, s[0:1], s4, v22
	v_addc_co_u32_e64 v13, s[0:1], v23, v26, s[0:1]
	v_mul_f64 v[4:5], v[4:5], s[2:3]
	v_mul_f64 v[6:7], v[6:7], s[2:3]
	;; [unrolled: 1-line block ×4, first 2 shown]
	global_store_dwordx4 v[12:13], v[0:3], off
	s_nop 0
	v_add_co_u32_e64 v0, s[0:1], s4, v12
	v_addc_co_u32_e64 v1, s[0:1], v13, v26, s[0:1]
	global_store_dwordx4 v[0:1], v[4:7], off
	v_add_co_u32_e64 v0, s[0:1], s4, v0
	v_addc_co_u32_e64 v1, s[0:1], v1, v26, s[0:1]
	global_store_dwordx4 v[0:1], v[8:11], off
	s_and_b64 exec, exec, vcc
	s_cbranch_execz .LBB0_15
; %bb.14:
	buffer_load_dword v19, off, s[64:67], 0 offset:116 ; 4-byte Folded Reload
	buffer_load_dword v20, off, s[64:67], 0 offset:120 ; 4-byte Folded Reload
	s_waitcnt vmcnt(0)
	global_load_dwordx4 v[2:5], v[19:20], off offset:816
	ds_read_b128 v[6:9], v255 offset:816
	ds_read_b128 v[10:13], v255 offset:2112
	s_waitcnt vmcnt(0) lgkmcnt(1)
	v_mul_f64 v[14:15], v[8:9], v[4:5]
	v_mul_f64 v[4:5], v[6:7], v[4:5]
	v_fma_f64 v[6:7], v[6:7], v[2:3], v[14:15]
	v_fma_f64 v[4:5], v[2:3], v[8:9], -v[4:5]
	v_mul_f64 v[2:3], v[6:7], s[2:3]
	v_mul_f64 v[4:5], v[4:5], s[2:3]
	v_mov_b32_e32 v6, 0xffffb230
	v_mad_u64_u32 v[6:7], s[0:1], s8, v6, v[0:1]
	s_mul_i32 s0, s9, 0xffffb230
	s_sub_i32 s0, s0, s8
	v_add_u32_e32 v7, s0, v7
	s_movk_i32 s0, 0x1000
	global_store_dwordx4 v[6:7], v[2:5], off
	global_load_dwordx4 v[0:3], v[19:20], off offset:2112
	s_waitcnt vmcnt(0) lgkmcnt(0)
	v_mul_f64 v[4:5], v[12:13], v[2:3]
	v_mul_f64 v[2:3], v[10:11], v[2:3]
	v_fma_f64 v[4:5], v[10:11], v[0:1], v[4:5]
	v_fma_f64 v[8:9], v[0:1], v[12:13], -v[2:3]
	v_mov_b32_e32 v0, s5
	v_add_co_u32_e32 v13, vcc, s4, v6
	v_addc_co_u32_e32 v14, vcc, v7, v0, vcc
	v_mul_f64 v[1:2], v[4:5], s[2:3]
	v_mul_f64 v[3:4], v[8:9], s[2:3]
	global_store_dwordx4 v[13:14], v[1:4], off
	global_load_dwordx4 v[1:4], v[19:20], off offset:3408
	ds_read_b128 v[5:8], v255 offset:3408
	ds_read_b128 v[9:12], v255 offset:4704
	s_waitcnt vmcnt(0) lgkmcnt(1)
	v_mul_f64 v[15:16], v[7:8], v[3:4]
	v_mul_f64 v[3:4], v[5:6], v[3:4]
	v_fma_f64 v[5:6], v[5:6], v[1:2], v[15:16]
	v_fma_f64 v[3:4], v[1:2], v[7:8], -v[3:4]
	v_add_co_u32_e32 v15, vcc, s0, v19
	v_addc_co_u32_e32 v16, vcc, 0, v20, vcc
	s_movk_i32 s0, 0x2000
	v_mul_f64 v[1:2], v[5:6], s[2:3]
	v_mul_f64 v[3:4], v[3:4], s[2:3]
	v_add_co_u32_e32 v5, vcc, s4, v13
	v_addc_co_u32_e32 v6, vcc, v14, v0, vcc
	v_add_co_u32_e32 v13, vcc, s4, v5
	v_addc_co_u32_e32 v14, vcc, v6, v0, vcc
	global_store_dwordx4 v[5:6], v[1:4], off
	global_load_dwordx4 v[1:4], v[15:16], off offset:608
	s_waitcnt vmcnt(0) lgkmcnt(0)
	v_mul_f64 v[7:8], v[11:12], v[3:4]
	v_mul_f64 v[3:4], v[9:10], v[3:4]
	v_fma_f64 v[7:8], v[9:10], v[1:2], v[7:8]
	v_fma_f64 v[3:4], v[1:2], v[11:12], -v[3:4]
	v_mul_f64 v[1:2], v[7:8], s[2:3]
	v_mul_f64 v[3:4], v[3:4], s[2:3]
	global_store_dwordx4 v[13:14], v[1:4], off
	global_load_dwordx4 v[1:4], v[15:16], off offset:1904
	ds_read_b128 v[5:8], v255 offset:6000
	ds_read_b128 v[9:12], v255 offset:7296
	s_waitcnt vmcnt(0) lgkmcnt(1)
	v_mul_f64 v[17:18], v[7:8], v[3:4]
	v_mul_f64 v[3:4], v[5:6], v[3:4]
	v_fma_f64 v[5:6], v[5:6], v[1:2], v[17:18]
	v_fma_f64 v[3:4], v[1:2], v[7:8], -v[3:4]
	v_mul_f64 v[1:2], v[5:6], s[2:3]
	v_mul_f64 v[3:4], v[3:4], s[2:3]
	v_add_co_u32_e32 v5, vcc, s4, v13
	v_addc_co_u32_e32 v6, vcc, v14, v0, vcc
	v_add_co_u32_e32 v13, vcc, s0, v19
	v_addc_co_u32_e32 v14, vcc, 0, v20, vcc
	global_store_dwordx4 v[5:6], v[1:4], off
	global_load_dwordx4 v[1:4], v[15:16], off offset:3200
	v_add_co_u32_e32 v15, vcc, s4, v5
	v_addc_co_u32_e32 v16, vcc, v6, v0, vcc
	s_movk_i32 s0, 0x3000
	s_waitcnt vmcnt(0) lgkmcnt(0)
	v_mul_f64 v[7:8], v[11:12], v[3:4]
	v_mul_f64 v[3:4], v[9:10], v[3:4]
	v_fma_f64 v[7:8], v[9:10], v[1:2], v[7:8]
	v_fma_f64 v[3:4], v[1:2], v[11:12], -v[3:4]
	v_mul_f64 v[1:2], v[7:8], s[2:3]
	v_mul_f64 v[3:4], v[3:4], s[2:3]
	global_store_dwordx4 v[15:16], v[1:4], off
	global_load_dwordx4 v[1:4], v[13:14], off offset:400
	ds_read_b128 v[5:8], v255 offset:8592
	ds_read_b128 v[9:12], v255 offset:9888
	s_waitcnt vmcnt(0) lgkmcnt(1)
	v_mul_f64 v[17:18], v[7:8], v[3:4]
	v_mul_f64 v[3:4], v[5:6], v[3:4]
	v_fma_f64 v[5:6], v[5:6], v[1:2], v[17:18]
	v_fma_f64 v[3:4], v[1:2], v[7:8], -v[3:4]
	v_mul_f64 v[1:2], v[5:6], s[2:3]
	v_mul_f64 v[3:4], v[3:4], s[2:3]
	v_add_co_u32_e32 v5, vcc, s4, v15
	v_addc_co_u32_e32 v6, vcc, v16, v0, vcc
	v_add_co_u32_e32 v15, vcc, s4, v5
	v_addc_co_u32_e32 v16, vcc, v6, v0, vcc
	global_store_dwordx4 v[5:6], v[1:4], off
	global_load_dwordx4 v[1:4], v[13:14], off offset:1696
	s_waitcnt vmcnt(0) lgkmcnt(0)
	v_mul_f64 v[7:8], v[11:12], v[3:4]
	v_mul_f64 v[3:4], v[9:10], v[3:4]
	v_fma_f64 v[7:8], v[9:10], v[1:2], v[7:8]
	v_fma_f64 v[3:4], v[1:2], v[11:12], -v[3:4]
	v_mul_f64 v[1:2], v[7:8], s[2:3]
	v_mul_f64 v[3:4], v[3:4], s[2:3]
	global_store_dwordx4 v[15:16], v[1:4], off
	global_load_dwordx4 v[1:4], v[13:14], off offset:2992
	ds_read_b128 v[5:8], v255 offset:11184
	ds_read_b128 v[9:12], v255 offset:12480
	s_waitcnt vmcnt(0) lgkmcnt(1)
	v_mul_f64 v[13:14], v[7:8], v[3:4]
	v_mul_f64 v[3:4], v[5:6], v[3:4]
	v_fma_f64 v[5:6], v[5:6], v[1:2], v[13:14]
	v_fma_f64 v[3:4], v[1:2], v[7:8], -v[3:4]
	v_add_co_u32_e32 v13, vcc, s0, v19
	v_addc_co_u32_e32 v14, vcc, 0, v20, vcc
	s_movk_i32 s0, 0x4000
	v_mul_f64 v[1:2], v[5:6], s[2:3]
	v_mul_f64 v[3:4], v[3:4], s[2:3]
	v_add_co_u32_e32 v5, vcc, s4, v15
	v_addc_co_u32_e32 v6, vcc, v16, v0, vcc
	v_add_co_u32_e32 v15, vcc, s4, v5
	v_addc_co_u32_e32 v16, vcc, v6, v0, vcc
	global_store_dwordx4 v[5:6], v[1:4], off
	global_load_dwordx4 v[1:4], v[13:14], off offset:192
	s_waitcnt vmcnt(0) lgkmcnt(0)
	v_mul_f64 v[7:8], v[11:12], v[3:4]
	v_mul_f64 v[3:4], v[9:10], v[3:4]
	v_fma_f64 v[7:8], v[9:10], v[1:2], v[7:8]
	v_fma_f64 v[3:4], v[1:2], v[11:12], -v[3:4]
	v_mul_f64 v[1:2], v[7:8], s[2:3]
	v_mul_f64 v[3:4], v[3:4], s[2:3]
	global_store_dwordx4 v[15:16], v[1:4], off
	global_load_dwordx4 v[1:4], v[13:14], off offset:1488
	ds_read_b128 v[5:8], v255 offset:13776
	ds_read_b128 v[9:12], v255 offset:15072
	s_waitcnt vmcnt(0) lgkmcnt(1)
	v_mul_f64 v[17:18], v[7:8], v[3:4]
	v_mul_f64 v[3:4], v[5:6], v[3:4]
	v_fma_f64 v[5:6], v[5:6], v[1:2], v[17:18]
	v_fma_f64 v[3:4], v[1:2], v[7:8], -v[3:4]
	v_mul_f64 v[1:2], v[5:6], s[2:3]
	v_mul_f64 v[3:4], v[3:4], s[2:3]
	v_add_co_u32_e32 v5, vcc, s4, v15
	v_addc_co_u32_e32 v6, vcc, v16, v0, vcc
	v_add_co_u32_e32 v15, vcc, s4, v5
	v_addc_co_u32_e32 v16, vcc, v6, v0, vcc
	global_store_dwordx4 v[5:6], v[1:4], off
	global_load_dwordx4 v[1:4], v[13:14], off offset:2784
	s_waitcnt vmcnt(0) lgkmcnt(0)
	v_mul_f64 v[7:8], v[11:12], v[3:4]
	v_mul_f64 v[3:4], v[9:10], v[3:4]
	v_fma_f64 v[7:8], v[9:10], v[1:2], v[7:8]
	v_fma_f64 v[3:4], v[1:2], v[11:12], -v[3:4]
	v_mul_f64 v[1:2], v[7:8], s[2:3]
	v_mul_f64 v[3:4], v[3:4], s[2:3]
	global_store_dwordx4 v[15:16], v[1:4], off
	global_load_dwordx4 v[1:4], v[13:14], off offset:4080
	ds_read_b128 v[5:8], v255 offset:16368
	ds_read_b128 v[9:12], v255 offset:17664
	s_waitcnt vmcnt(0) lgkmcnt(1)
	v_mul_f64 v[13:14], v[7:8], v[3:4]
	v_mul_f64 v[3:4], v[5:6], v[3:4]
	v_fma_f64 v[5:6], v[5:6], v[1:2], v[13:14]
	v_fma_f64 v[3:4], v[1:2], v[7:8], -v[3:4]
	v_add_co_u32_e32 v13, vcc, s0, v19
	v_addc_co_u32_e32 v14, vcc, 0, v20, vcc
	s_movk_i32 s0, 0x5000
	v_mul_f64 v[1:2], v[5:6], s[2:3]
	v_mul_f64 v[3:4], v[3:4], s[2:3]
	v_add_co_u32_e32 v5, vcc, s4, v15
	v_addc_co_u32_e32 v6, vcc, v16, v0, vcc
	v_add_co_u32_e32 v15, vcc, s4, v5
	v_addc_co_u32_e32 v16, vcc, v6, v0, vcc
	global_store_dwordx4 v[5:6], v[1:4], off
	global_load_dwordx4 v[1:4], v[13:14], off offset:1280
	s_waitcnt vmcnt(0) lgkmcnt(0)
	v_mul_f64 v[7:8], v[11:12], v[3:4]
	v_mul_f64 v[3:4], v[9:10], v[3:4]
	v_fma_f64 v[7:8], v[9:10], v[1:2], v[7:8]
	v_fma_f64 v[3:4], v[1:2], v[11:12], -v[3:4]
	v_mul_f64 v[1:2], v[7:8], s[2:3]
	v_mul_f64 v[3:4], v[3:4], s[2:3]
	global_store_dwordx4 v[15:16], v[1:4], off
	global_load_dwordx4 v[1:4], v[13:14], off offset:2576
	ds_read_b128 v[5:8], v255 offset:18960
	ds_read_b128 v[9:12], v255 offset:20256
	s_waitcnt vmcnt(0) lgkmcnt(1)
	v_mul_f64 v[17:18], v[7:8], v[3:4]
	v_mul_f64 v[3:4], v[5:6], v[3:4]
	v_fma_f64 v[5:6], v[5:6], v[1:2], v[17:18]
	v_fma_f64 v[3:4], v[1:2], v[7:8], -v[3:4]
	v_mul_f64 v[1:2], v[5:6], s[2:3]
	v_mul_f64 v[3:4], v[3:4], s[2:3]
	v_add_co_u32_e32 v5, vcc, s4, v15
	v_addc_co_u32_e32 v6, vcc, v16, v0, vcc
	global_store_dwordx4 v[5:6], v[1:4], off
	global_load_dwordx4 v[1:4], v[13:14], off offset:3872
	s_waitcnt vmcnt(0) lgkmcnt(0)
	v_mul_f64 v[7:8], v[11:12], v[3:4]
	v_mul_f64 v[3:4], v[9:10], v[3:4]
	v_fma_f64 v[7:8], v[9:10], v[1:2], v[7:8]
	v_fma_f64 v[3:4], v[1:2], v[11:12], -v[3:4]
	v_mul_f64 v[1:2], v[7:8], s[2:3]
	v_mul_f64 v[3:4], v[3:4], s[2:3]
	v_add_co_u32_e32 v7, vcc, s0, v19
	v_addc_co_u32_e32 v8, vcc, 0, v20, vcc
	v_add_co_u32_e32 v9, vcc, s4, v5
	v_addc_co_u32_e32 v10, vcc, v6, v0, vcc
	global_store_dwordx4 v[9:10], v[1:4], off
	global_load_dwordx4 v[1:4], v[7:8], off offset:1072
	ds_read_b128 v[5:8], v255 offset:21552
	s_waitcnt vmcnt(0) lgkmcnt(0)
	v_mul_f64 v[11:12], v[7:8], v[3:4]
	v_mul_f64 v[3:4], v[5:6], v[3:4]
	v_fma_f64 v[5:6], v[5:6], v[1:2], v[11:12]
	v_fma_f64 v[3:4], v[1:2], v[7:8], -v[3:4]
	v_mul_f64 v[1:2], v[5:6], s[2:3]
	v_mul_f64 v[3:4], v[3:4], s[2:3]
	v_add_co_u32_e32 v5, vcc, s4, v9
	v_addc_co_u32_e32 v6, vcc, v10, v0, vcc
	global_store_dwordx4 v[5:6], v[1:4], off
.LBB0_15:
	s_endpgm
	.section	.rodata,"a",@progbits
	.p2align	6, 0x0
	.amdhsa_kernel bluestein_single_fwd_len1377_dim1_dp_op_CI_CI
		.amdhsa_group_segment_fixed_size 22032
		.amdhsa_private_segment_fixed_size 1492
		.amdhsa_kernarg_size 104
		.amdhsa_user_sgpr_count 6
		.amdhsa_user_sgpr_private_segment_buffer 1
		.amdhsa_user_sgpr_dispatch_ptr 0
		.amdhsa_user_sgpr_queue_ptr 0
		.amdhsa_user_sgpr_kernarg_segment_ptr 1
		.amdhsa_user_sgpr_dispatch_id 0
		.amdhsa_user_sgpr_flat_scratch_init 0
		.amdhsa_user_sgpr_private_segment_size 0
		.amdhsa_uses_dynamic_stack 0
		.amdhsa_system_sgpr_private_segment_wavefront_offset 1
		.amdhsa_system_sgpr_workgroup_id_x 1
		.amdhsa_system_sgpr_workgroup_id_y 0
		.amdhsa_system_sgpr_workgroup_id_z 0
		.amdhsa_system_sgpr_workgroup_info 0
		.amdhsa_system_vgpr_workitem_id 0
		.amdhsa_next_free_vgpr 256
		.amdhsa_next_free_sgpr 68
		.amdhsa_reserve_vcc 1
		.amdhsa_reserve_flat_scratch 0
		.amdhsa_float_round_mode_32 0
		.amdhsa_float_round_mode_16_64 0
		.amdhsa_float_denorm_mode_32 3
		.amdhsa_float_denorm_mode_16_64 3
		.amdhsa_dx10_clamp 1
		.amdhsa_ieee_mode 1
		.amdhsa_fp16_overflow 0
		.amdhsa_exception_fp_ieee_invalid_op 0
		.amdhsa_exception_fp_denorm_src 0
		.amdhsa_exception_fp_ieee_div_zero 0
		.amdhsa_exception_fp_ieee_overflow 0
		.amdhsa_exception_fp_ieee_underflow 0
		.amdhsa_exception_fp_ieee_inexact 0
		.amdhsa_exception_int_div_zero 0
	.end_amdhsa_kernel
	.text
.Lfunc_end0:
	.size	bluestein_single_fwd_len1377_dim1_dp_op_CI_CI, .Lfunc_end0-bluestein_single_fwd_len1377_dim1_dp_op_CI_CI
                                        ; -- End function
	.section	.AMDGPU.csdata,"",@progbits
; Kernel info:
; codeLenInByte = 60940
; NumSgprs: 72
; NumVgprs: 256
; ScratchSize: 1492
; MemoryBound: 0
; FloatMode: 240
; IeeeMode: 1
; LDSByteSize: 22032 bytes/workgroup (compile time only)
; SGPRBlocks: 8
; VGPRBlocks: 63
; NumSGPRsForWavesPerEU: 72
; NumVGPRsForWavesPerEU: 256
; Occupancy: 1
; WaveLimiterHint : 1
; COMPUTE_PGM_RSRC2:SCRATCH_EN: 1
; COMPUTE_PGM_RSRC2:USER_SGPR: 6
; COMPUTE_PGM_RSRC2:TRAP_HANDLER: 0
; COMPUTE_PGM_RSRC2:TGID_X_EN: 1
; COMPUTE_PGM_RSRC2:TGID_Y_EN: 0
; COMPUTE_PGM_RSRC2:TGID_Z_EN: 0
; COMPUTE_PGM_RSRC2:TIDIG_COMP_CNT: 0
	.type	__hip_cuid_259dd0e1c0e6e74e,@object ; @__hip_cuid_259dd0e1c0e6e74e
	.section	.bss,"aw",@nobits
	.globl	__hip_cuid_259dd0e1c0e6e74e
__hip_cuid_259dd0e1c0e6e74e:
	.byte	0                               ; 0x0
	.size	__hip_cuid_259dd0e1c0e6e74e, 1

	.ident	"AMD clang version 19.0.0git (https://github.com/RadeonOpenCompute/llvm-project roc-6.4.0 25133 c7fe45cf4b819c5991fe208aaa96edf142730f1d)"
	.section	".note.GNU-stack","",@progbits
	.addrsig
	.addrsig_sym __hip_cuid_259dd0e1c0e6e74e
	.amdgpu_metadata
---
amdhsa.kernels:
  - .args:
      - .actual_access:  read_only
        .address_space:  global
        .offset:         0
        .size:           8
        .value_kind:     global_buffer
      - .actual_access:  read_only
        .address_space:  global
        .offset:         8
        .size:           8
        .value_kind:     global_buffer
      - .actual_access:  read_only
        .address_space:  global
        .offset:         16
        .size:           8
        .value_kind:     global_buffer
      - .actual_access:  read_only
        .address_space:  global
        .offset:         24
        .size:           8
        .value_kind:     global_buffer
      - .actual_access:  read_only
        .address_space:  global
        .offset:         32
        .size:           8
        .value_kind:     global_buffer
      - .offset:         40
        .size:           8
        .value_kind:     by_value
      - .address_space:  global
        .offset:         48
        .size:           8
        .value_kind:     global_buffer
      - .address_space:  global
        .offset:         56
        .size:           8
        .value_kind:     global_buffer
      - .address_space:  global
        .offset:         64
        .size:           8
        .value_kind:     global_buffer
      - .address_space:  global
        .offset:         72
        .size:           8
        .value_kind:     global_buffer
      - .offset:         80
        .size:           4
        .value_kind:     by_value
      - .address_space:  global
        .offset:         88
        .size:           8
        .value_kind:     global_buffer
      - .address_space:  global
        .offset:         96
        .size:           8
        .value_kind:     global_buffer
    .group_segment_fixed_size: 22032
    .kernarg_segment_align: 8
    .kernarg_segment_size: 104
    .language:       OpenCL C
    .language_version:
      - 2
      - 0
    .max_flat_workgroup_size: 51
    .name:           bluestein_single_fwd_len1377_dim1_dp_op_CI_CI
    .private_segment_fixed_size: 1492
    .sgpr_count:     72
    .sgpr_spill_count: 0
    .symbol:         bluestein_single_fwd_len1377_dim1_dp_op_CI_CI.kd
    .uniform_work_group_size: 1
    .uses_dynamic_stack: false
    .vgpr_count:     256
    .vgpr_spill_count: 502
    .wavefront_size: 64
amdhsa.target:   amdgcn-amd-amdhsa--gfx906
amdhsa.version:
  - 1
  - 2
...

	.end_amdgpu_metadata
